;; amdgpu-corpus repo=ROCm/rocFFT kind=compiled arch=gfx1030 opt=O3
	.text
	.amdgcn_target "amdgcn-amd-amdhsa--gfx1030"
	.amdhsa_code_object_version 6
	.protected	bluestein_single_back_len273_dim1_dp_op_CI_CI ; -- Begin function bluestein_single_back_len273_dim1_dp_op_CI_CI
	.globl	bluestein_single_back_len273_dim1_dp_op_CI_CI
	.p2align	8
	.type	bluestein_single_back_len273_dim1_dp_op_CI_CI,@function
bluestein_single_back_len273_dim1_dp_op_CI_CI: ; @bluestein_single_back_len273_dim1_dp_op_CI_CI
; %bb.0:
	s_load_dwordx4 s[8:11], s[4:5], 0x28
	v_mul_u32_u24_e32 v1, 0x13b2, v0
	s_mov_b64 s[50:51], s[2:3]
	s_mov_b64 s[48:49], s[0:1]
	v_mov_b32_e32 v7, 0
	s_add_u32 s48, s48, s7
	v_lshrrev_b32_e32 v5, 16, v1
	s_addc_u32 s49, s49, 0
	s_mov_b32 s0, exec_lo
	v_lshl_add_u32 v6, s6, 2, v5
	s_waitcnt lgkmcnt(0)
	v_cmpx_gt_u64_e64 s[8:9], v[6:7]
	s_cbranch_execz .LBB0_15
; %bb.1:
	s_clause 0x1
	s_load_dwordx4 s[0:3], s[4:5], 0x18
	s_load_dwordx2 s[6:7], s[4:5], 0x0
	v_mul_lo_u16 v1, v5, 13
	v_mov_b32_e32 v7, v6
	v_and_b32_e32 v5, 3, v5
	v_sub_nc_u16 v4, v0, v1
	v_mul_u32_u24_e32 v5, 0x111, v5
	v_and_b32_e32 v106, 0xffff, v4
	v_lshlrev_b32_e32 v147, 4, v5
	v_lshlrev_b32_e32 v148, 4, v106
	s_waitcnt lgkmcnt(0)
	s_load_dwordx4 s[12:15], s[0:1], 0x0
	buffer_store_dword v7, off, s[48:51], 0 offset:136 ; 4-byte Folded Spill
	buffer_store_dword v8, off, s[48:51], 0 offset:140 ; 4-byte Folded Spill
	v_add_co_u32 v12, s0, s6, v148
	v_add_co_ci_u32_e64 v13, null, s7, 0, s0
	s_clause 0x6
	global_load_dwordx4 v[78:81], v148, s[6:7]
	global_load_dwordx4 v[82:85], v148, s[6:7] offset:336
	global_load_dwordx4 v[135:138], v148, s[6:7] offset:672
	;; [unrolled: 1-line block ×6, first 2 shown]
	v_add_nc_u32_e32 v166, v147, v148
	s_waitcnt lgkmcnt(0)
	v_mad_u64_u32 v[0:1], null, s14, v6, 0
	v_mad_u64_u32 v[2:3], null, s12, v106, 0
	s_mul_i32 s1, s13, 21
	s_mul_hi_u32 s8, s12, 21
	s_mul_i32 s0, s12, 21
	s_add_i32 s1, s8, s1
	s_lshl_b64 s[16:17], s[0:1], 4
	v_mad_u64_u32 v[6:7], null, s15, v6, v[1:2]
	v_mad_u64_u32 v[7:8], null, s13, v106, v[3:4]
	v_mov_b32_e32 v1, v6
	v_mov_b32_e32 v3, v7
	v_lshlrev_b64 v[0:1], 4, v[0:1]
	v_lshlrev_b64 v[6:7], 4, v[2:3]
	v_add_co_u32 v2, vcc_lo, s10, v0
	v_add_co_ci_u32_e32 v3, vcc_lo, s11, v1, vcc_lo
	v_add_co_u32 v0, vcc_lo, v2, v6
	v_add_co_ci_u32_e32 v1, vcc_lo, v3, v7, vcc_lo
	;; [unrolled: 2-line block ×3, first 2 shown]
	v_add_co_u32 v54, vcc_lo, 0x800, v12
	buffer_store_dword v12, off, s[48:51], 0 offset:88 ; 4-byte Folded Spill
	buffer_store_dword v13, off, s[48:51], 0 offset:92 ; 4-byte Folded Spill
	v_add_co_ci_u32_e32 v55, vcc_lo, 0, v13, vcc_lo
	v_add_co_u32 v14, vcc_lo, v10, s16
	v_add_co_ci_u32_e32 v15, vcc_lo, s17, v11, vcc_lo
	s_clause 0x1
	global_load_dwordx4 v[111:114], v[54:55], off offset:304
	global_load_dwordx4 v[115:118], v[54:55], off offset:640
	v_add_co_u32 v18, vcc_lo, v14, s16
	v_add_co_ci_u32_e32 v19, vcc_lo, s17, v15, vcc_lo
	s_clause 0x1
	global_load_dwordx4 v[119:122], v[54:55], off offset:976
	global_load_dwordx4 v[123:126], v[54:55], off offset:1312
	v_add_co_u32 v22, vcc_lo, v18, s16
	v_add_co_ci_u32_e32 v23, vcc_lo, s17, v19, vcc_lo
	s_clause 0x1
	global_load_dwordx4 v[6:9], v[0:1], off
	global_load_dwordx4 v[10:13], v[10:11], off
	v_add_co_u32 v0, vcc_lo, v22, s16
	v_add_co_ci_u32_e32 v1, vcc_lo, s17, v23, vcc_lo
	s_clause 0x1
	global_load_dwordx4 v[14:17], v[14:15], off
	global_load_dwordx4 v[18:21], v[18:19], off
	v_add_co_u32 v30, vcc_lo, v0, s16
	v_add_co_ci_u32_e32 v31, vcc_lo, s17, v1, vcc_lo
	global_load_dwordx4 v[26:29], v[0:1], off
	v_add_co_u32 v34, vcc_lo, v30, s16
	v_add_co_ci_u32_e32 v35, vcc_lo, s17, v31, vcc_lo
	;; [unrolled: 3-line block ×7, first 2 shown]
	global_load_dwordx4 v[46:49], v[46:47], off
	global_load_dwordx4 v[50:53], v[50:51], off
	global_load_dwordx4 v[139:142], v[54:55], off offset:1648
	buffer_store_dword v54, off, s[48:51], 0 offset:96 ; 4-byte Folded Spill
	buffer_store_dword v55, off, s[48:51], 0 offset:100 ; 4-byte Folded Spill
	v_cmp_gt_u16_e32 vcc_lo, 8, v4
	v_or_b32_e32 v4, 0xa0, v106
	global_load_dwordx4 v[143:146], v[54:55], off offset:1984
	global_load_dwordx4 v[54:57], v[0:1], off
	s_waitcnt vmcnt(14)
	v_mul_f64 v[58:59], v[8:9], v[80:81]
	v_mul_f64 v[60:61], v[6:7], v[80:81]
	buffer_store_dword v5, off, s[48:51], 0 offset:4 ; 4-byte Folded Spill
	s_waitcnt vmcnt(13)
	v_mul_f64 v[62:63], v[12:13], v[84:85]
	v_mul_f64 v[64:65], v[10:11], v[84:85]
	s_waitcnt vmcnt(12)
	v_mul_f64 v[66:67], v[16:17], v[137:138]
	v_mul_f64 v[68:69], v[14:15], v[137:138]
	;; [unrolled: 3-line block ×7, first 2 shown]
	v_fma_f64 v[5:6], v[6:7], v[78:79], v[58:59]
	buffer_store_dword v78, off, s[48:51], 0 offset:176 ; 4-byte Folded Spill
	buffer_store_dword v79, off, s[48:51], 0 offset:180 ; 4-byte Folded Spill
	;; [unrolled: 1-line block ×4, first 2 shown]
	v_mul_f64 v[58:59], v[28:29], v[104:105]
	v_mul_f64 v[80:81], v[34:35], v[113:114]
	s_waitcnt vmcnt(0)
	v_mul_f64 v[98:99], v[56:57], v[145:146]
	v_mul_f64 v[100:101], v[54:55], v[145:146]
	v_fma_f64 v[7:8], v[8:9], v[78:79], -v[60:61]
	v_fma_f64 v[9:10], v[10:11], v[82:83], v[62:63]
	buffer_store_dword v82, off, s[48:51], 0 offset:256 ; 4-byte Folded Spill
	buffer_store_dword v83, off, s[48:51], 0 offset:260 ; 4-byte Folded Spill
	;; [unrolled: 1-line block ×4, first 2 shown]
	v_mul_f64 v[60:61], v[26:27], v[104:105]
	v_mul_f64 v[62:63], v[32:33], v[109:110]
	;; [unrolled: 1-line block ×4, first 2 shown]
	v_fma_f64 v[11:12], v[12:13], v[82:83], -v[64:65]
	v_fma_f64 v[13:14], v[14:15], v[135:136], v[66:67]
	buffer_store_dword v135, off, s[48:51], 0 offset:272 ; 4-byte Folded Spill
	buffer_store_dword v136, off, s[48:51], 0 offset:276 ; 4-byte Folded Spill
	;; [unrolled: 1-line block ×4, first 2 shown]
	v_mul_f64 v[64:65], v[30:31], v[109:110]
	v_mul_f64 v[82:83], v[40:41], v[117:118]
	v_fma_f64 v[15:16], v[16:17], v[135:136], -v[68:69]
	v_fma_f64 v[17:18], v[18:19], v[131:132], v[70:71]
	buffer_store_dword v131, off, s[48:51], 0 offset:240 ; 4-byte Folded Spill
	buffer_store_dword v132, off, s[48:51], 0 offset:244 ; 4-byte Folded Spill
	buffer_store_dword v133, off, s[48:51], 0 offset:248 ; 4-byte Folded Spill
	buffer_store_dword v134, off, s[48:51], 0 offset:252 ; 4-byte Folded Spill
	v_fma_f64 v[19:20], v[20:21], v[131:132], -v[72:73]
	v_fma_f64 v[21:22], v[22:23], v[127:128], v[74:75]
	buffer_store_dword v127, off, s[48:51], 0 offset:224 ; 4-byte Folded Spill
	buffer_store_dword v128, off, s[48:51], 0 offset:228 ; 4-byte Folded Spill
	buffer_store_dword v129, off, s[48:51], 0 offset:232 ; 4-byte Folded Spill
	buffer_store_dword v130, off, s[48:51], 0 offset:236 ; 4-byte Folded Spill
	v_fma_f64 v[23:24], v[24:25], v[127:128], -v[76:77]
	v_fma_f64 v[25:26], v[26:27], v[102:103], v[58:59]
	buffer_store_dword v102, off, s[48:51], 0 offset:104 ; 4-byte Folded Spill
	buffer_store_dword v103, off, s[48:51], 0 offset:108 ; 4-byte Folded Spill
	buffer_store_dword v104, off, s[48:51], 0 offset:112 ; 4-byte Folded Spill
	buffer_store_dword v105, off, s[48:51], 0 offset:116 ; 4-byte Folded Spill
	v_fma_f64 v[27:28], v[28:29], v[102:103], -v[60:61]
	v_fma_f64 v[29:30], v[30:31], v[107:108], v[62:63]
	buffer_store_dword v107, off, s[48:51], 0 offset:120 ; 4-byte Folded Spill
	buffer_store_dword v108, off, s[48:51], 0 offset:124 ; 4-byte Folded Spill
	buffer_store_dword v109, off, s[48:51], 0 offset:128 ; 4-byte Folded Spill
	buffer_store_dword v110, off, s[48:51], 0 offset:132 ; 4-byte Folded Spill
	v_fma_f64 v[31:32], v[32:33], v[107:108], -v[64:65]
	v_fma_f64 v[33:34], v[34:35], v[111:112], v[78:79]
	buffer_store_dword v111, off, s[48:51], 0 offset:144 ; 4-byte Folded Spill
	buffer_store_dword v112, off, s[48:51], 0 offset:148 ; 4-byte Folded Spill
	buffer_store_dword v113, off, s[48:51], 0 offset:152 ; 4-byte Folded Spill
	buffer_store_dword v114, off, s[48:51], 0 offset:156 ; 4-byte Folded Spill
	v_fma_f64 v[35:36], v[36:37], v[111:112], -v[80:81]
	v_fma_f64 v[37:38], v[38:39], v[115:116], v[82:83]
	buffer_store_dword v115, off, s[48:51], 0 offset:160 ; 4-byte Folded Spill
	buffer_store_dword v116, off, s[48:51], 0 offset:164 ; 4-byte Folded Spill
	buffer_store_dword v117, off, s[48:51], 0 offset:168 ; 4-byte Folded Spill
	buffer_store_dword v118, off, s[48:51], 0 offset:172 ; 4-byte Folded Spill
	v_fma_f64 v[39:40], v[40:41], v[115:116], -v[84:85]
	v_fma_f64 v[41:42], v[42:43], v[119:120], v[86:87]
	buffer_store_dword v119, off, s[48:51], 0 offset:192 ; 4-byte Folded Spill
	buffer_store_dword v120, off, s[48:51], 0 offset:196 ; 4-byte Folded Spill
	buffer_store_dword v121, off, s[48:51], 0 offset:200 ; 4-byte Folded Spill
	buffer_store_dword v122, off, s[48:51], 0 offset:204 ; 4-byte Folded Spill
	v_fma_f64 v[43:44], v[44:45], v[119:120], -v[88:89]
	v_fma_f64 v[45:46], v[46:47], v[123:124], v[90:91]
	buffer_store_dword v123, off, s[48:51], 0 offset:208 ; 4-byte Folded Spill
	buffer_store_dword v124, off, s[48:51], 0 offset:212 ; 4-byte Folded Spill
	buffer_store_dword v125, off, s[48:51], 0 offset:216 ; 4-byte Folded Spill
	buffer_store_dword v126, off, s[48:51], 0 offset:220 ; 4-byte Folded Spill
	v_fma_f64 v[47:48], v[48:49], v[123:124], -v[92:93]
	v_fma_f64 v[49:50], v[50:51], v[139:140], v[94:95]
	buffer_store_dword v139, off, s[48:51], 0 offset:288 ; 4-byte Folded Spill
	buffer_store_dword v140, off, s[48:51], 0 offset:292 ; 4-byte Folded Spill
	buffer_store_dword v141, off, s[48:51], 0 offset:296 ; 4-byte Folded Spill
	buffer_store_dword v142, off, s[48:51], 0 offset:300 ; 4-byte Folded Spill
	v_fma_f64 v[51:52], v[52:53], v[139:140], -v[96:97]
	v_fma_f64 v[53:54], v[54:55], v[143:144], v[98:99]
	buffer_store_dword v143, off, s[48:51], 0 offset:304 ; 4-byte Folded Spill
	buffer_store_dword v144, off, s[48:51], 0 offset:308 ; 4-byte Folded Spill
	buffer_store_dword v145, off, s[48:51], 0 offset:312 ; 4-byte Folded Spill
	buffer_store_dword v146, off, s[48:51], 0 offset:316 ; 4-byte Folded Spill
	s_load_dwordx2 s[14:15], s[4:5], 0x38
	s_load_dwordx4 s[8:11], s[2:3], 0x0
	buffer_store_dword v148, off, s[48:51], 0 offset:328 ; 4-byte Folded Spill
	ds_write_b128 v166, v[5:8]
	ds_write_b128 v166, v[9:12] offset:336
	ds_write_b128 v166, v[13:16] offset:672
	;; [unrolled: 1-line block ×8, first 2 shown]
	buffer_store_dword v106, off, s[48:51], 0 ; 4-byte Folded Spill
	buffer_store_dword v4, off, s[48:51], 0 offset:516 ; 4-byte Folded Spill
	v_fma_f64 v[55:56], v[56:57], v[143:144], -v[100:101]
	ds_write_b128 v166, v[41:44] offset:3024
	ds_write_b128 v166, v[45:48] offset:3360
	;; [unrolled: 1-line block ×4, first 2 shown]
	s_and_saveexec_b32 s1, vcc_lo
	s_cbranch_execz .LBB0_3
; %bb.2:
	s_clause 0x2
	buffer_load_dword v4, off, s[48:51], 0
	buffer_load_dword v86, off, s[48:51], 0 offset:88
	buffer_load_dword v87, off, s[48:51], 0 offset:92
	v_mad_u64_u32 v[0:1], null, 0xfffff110, s12, v[0:1]
	s_mul_i32 s0, s13, 0xfffff110
	s_sub_i32 s0, s0, s12
	v_add_nc_u32_e32 v1, s0, v1
	v_add_co_u32 v48, s0, v0, s16
	v_add_co_ci_u32_e64 v49, s0, s17, v1, s0
	v_add_co_u32 v52, s0, v48, s16
	v_add_co_ci_u32_e64 v53, s0, s17, v49, s0
	;; [unrolled: 2-line block ×6, first 2 shown]
	v_mad_u64_u32 v[72:73], null, 0x2a0, s12, v[68:69]
	v_mov_b32_e32 v54, v73
	v_mad_u64_u32 v[62:63], null, 0x2a0, s13, v[54:55]
	v_mov_b32_e32 v73, v62
	s_waitcnt vmcnt(2)
	v_or_b32_e32 v34, 0xa0, v4
	s_waitcnt vmcnt(0)
	s_clause 0x1
	global_load_dwordx4 v[4:7], v[86:87], off offset:208
	global_load_dwordx4 v[8:11], v[86:87], off offset:544
	v_mad_u64_u32 v[50:51], null, s12, v34, 0
	v_lshlrev_b32_e32 v40, 4, v34
	v_mov_b32_e32 v12, v51
	v_mad_u64_u32 v[32:33], null, s13, v34, v[12:13]
	s_clause 0x3
	global_load_dwordx4 v[12:15], v[86:87], off offset:880
	global_load_dwordx4 v[16:19], v[86:87], off offset:1216
	;; [unrolled: 1-line block ×4, first 2 shown]
	s_clause 0x1
	buffer_load_dword v92, off, s[48:51], 0 offset:96
	buffer_load_dword v93, off, s[48:51], 0 offset:100
	v_mov_b32_e32 v51, v32
	s_waitcnt vmcnt(0)
	s_clause 0x3
	global_load_dwordx4 v[28:31], v[92:93], off offset:176
	global_load_dwordx4 v[32:35], v[92:93], off offset:848
	;; [unrolled: 1-line block ×3, first 2 shown]
	global_load_dwordx4 v[40:43], v40, s[6:7]
	global_load_dwordx4 v[44:47], v[0:1], off
	v_lshlrev_b64 v[0:1], 4, v[50:51]
	global_load_dwordx4 v[48:51], v[48:49], off
	global_load_dwordx4 v[52:55], v[52:53], off
	;; [unrolled: 1-line block ×3, first 2 shown]
	v_add_co_u32 v66, s0, v2, v0
	v_add_co_ci_u32_e64 v67, s0, v3, v1, s0
	v_add_co_u32 v76, s0, v72, s16
	v_add_co_ci_u32_e64 v77, s0, s17, v73, s0
	global_load_dwordx4 v[0:3], v[60:61], off
	v_add_co_u32 v84, s0, v76, s16
	v_add_co_ci_u32_e64 v85, s0, s17, v77, s0
	global_load_dwordx4 v[60:63], v[66:67], off
	v_add_co_u32 v88, s0, v84, s16
	v_add_co_ci_u32_e64 v89, s0, s17, v85, s0
	v_add_co_u32 v96, s0, 0x1000, v86
	v_add_co_ci_u32_e64 v97, s0, 0, v87, s0
	global_load_dwordx4 v[64:67], v[64:65], off
	global_load_dwordx4 v[68:71], v[68:69], off
	;; [unrolled: 1-line block ×5, first 2 shown]
	v_add_co_u32 v100, s0, v88, s16
	v_add_co_ci_u32_e64 v101, s0, s17, v89, s0
	global_load_dwordx4 v[84:87], v[92:93], off offset:1520
	global_load_dwordx4 v[88:91], v[88:89], off
	s_clause 0x1
	global_load_dwordx4 v[92:95], v[92:93], off offset:1856
	global_load_dwordx4 v[96:99], v[96:97], off offset:144
	global_load_dwordx4 v[100:103], v[100:101], off
	s_waitcnt vmcnt(14)
	v_mul_f64 v[106:107], v[50:51], v[10:11]
	v_mul_f64 v[104:105], v[46:47], v[6:7]
	;; [unrolled: 1-line block ×4, first 2 shown]
	s_waitcnt vmcnt(13)
	v_mul_f64 v[108:109], v[54:55], v[14:15]
	v_mul_f64 v[14:15], v[52:53], v[14:15]
	s_waitcnt vmcnt(12)
	v_mul_f64 v[110:111], v[58:59], v[18:19]
	v_mul_f64 v[18:19], v[56:57], v[18:19]
	;; [unrolled: 3-line block ×3, first 2 shown]
	v_fma_f64 v[44:45], v[44:45], v[4:5], v[104:105]
	v_fma_f64 v[46:47], v[46:47], v[4:5], -v[6:7]
	s_waitcnt vmcnt(9)
	v_mul_f64 v[114:115], v[66:67], v[26:27]
	v_mul_f64 v[26:27], v[64:65], v[26:27]
	v_fma_f64 v[4:5], v[48:49], v[8:9], v[106:107]
	s_waitcnt vmcnt(8)
	v_mul_f64 v[48:49], v[70:71], v[30:31]
	v_mul_f64 v[30:31], v[68:69], v[30:31]
	;; [unrolled: 1-line block ×4, first 2 shown]
	v_fma_f64 v[6:7], v[50:51], v[8:9], -v[10:11]
	s_waitcnt vmcnt(7)
	v_mul_f64 v[50:51], v[74:75], v[34:35]
	v_mul_f64 v[34:35], v[72:73], v[34:35]
	s_waitcnt vmcnt(6)
	v_mul_f64 v[106:107], v[78:79], v[38:39]
	v_mul_f64 v[38:39], v[76:77], v[38:39]
	;; [unrolled: 3-line block ×5, first 2 shown]
	v_fma_f64 v[8:9], v[52:53], v[12:13], v[108:109]
	v_fma_f64 v[10:11], v[54:55], v[12:13], -v[14:15]
	v_fma_f64 v[12:13], v[56:57], v[16:17], v[110:111]
	v_fma_f64 v[14:15], v[58:59], v[16:17], -v[18:19]
	;; [unrolled: 2-line block ×11, first 2 shown]
	ds_write_b128 v166, v[44:47] offset:208
	ds_write_b128 v166, v[4:7] offset:544
	ds_write_b128 v166, v[8:11] offset:880
	ds_write_b128 v166, v[12:15] offset:1216
	ds_write_b128 v166, v[0:3] offset:1552
	ds_write_b128 v166, v[20:23] offset:1888
	ds_write_b128 v166, v[24:27] offset:2224
	ds_write_b128 v166, v[16:19] offset:2560
	ds_write_b128 v166, v[28:31] offset:2896
	ds_write_b128 v166, v[32:35] offset:3232
	ds_write_b128 v166, v[36:39] offset:3568
	ds_write_b128 v166, v[40:43] offset:3904
	ds_write_b128 v166, v[48:51] offset:4240
.LBB0_3:
	s_or_b32 exec_lo, exec_lo, s1
	buffer_store_dword v147, off, s[48:51], 0 offset:320 ; 4-byte Folded Spill
	s_waitcnt lgkmcnt(0)
	s_waitcnt_vscnt null, 0x0
	s_barrier
	buffer_gl0_inv
	ds_read_b128 v[52:55], v166
	ds_read_b128 v[60:63], v166 offset:336
	ds_read_b128 v[64:67], v166 offset:672
	ds_read_b128 v[68:71], v166 offset:1008
	ds_read_b128 v[132:135], v166 offset:1344
	ds_read_b128 v[136:139], v166 offset:1680
	ds_read_b128 v[148:151], v166 offset:2016
	ds_read_b128 v[152:155], v166 offset:2352
	ds_read_b128 v[144:147], v166 offset:2688
	ds_read_b128 v[140:143], v166 offset:3024
	ds_read_b128 v[128:131], v166 offset:3360
	ds_read_b128 v[124:127], v166 offset:3696
	ds_read_b128 v[56:59], v166 offset:4032
	s_load_dwordx2 s[0:1], s[4:5], 0x8
                                        ; implicit-def: $vgpr80_vgpr81
                                        ; implicit-def: $vgpr100_vgpr101
                                        ; implicit-def: $vgpr104_vgpr105
                                        ; implicit-def: $vgpr108_vgpr109
                                        ; implicit-def: $vgpr116_vgpr117
                                        ; implicit-def: $vgpr120_vgpr121
                                        ; implicit-def: $vgpr112_vgpr113
                                        ; implicit-def: $vgpr96_vgpr97
                                        ; implicit-def: $vgpr92_vgpr93
                                        ; implicit-def: $vgpr88_vgpr89
                                        ; implicit-def: $vgpr84_vgpr85
                                        ; implicit-def: $vgpr76_vgpr77
                                        ; implicit-def: $vgpr72_vgpr73
	s_and_saveexec_b32 s2, vcc_lo
	s_cbranch_execz .LBB0_5
; %bb.4:
	ds_read_b128 v[80:83], v166 offset:208
	ds_read_b128 v[100:103], v166 offset:544
	;; [unrolled: 1-line block ×13, first 2 shown]
.LBB0_5:
	s_or_b32 exec_lo, exec_lo, s2
	s_waitcnt lgkmcnt(0)
	v_add_f64 v[0:1], v[52:53], v[60:61]
	v_add_f64 v[2:3], v[54:55], v[62:63]
	v_add_f64 v[4:5], v[62:63], -v[58:59]
	v_add_f64 v[10:11], v[60:61], -v[56:57]
	s_mov_b32 s20, 0x2ef20147
	s_mov_b32 s24, 0x24c2f84
	;; [unrolled: 1-line block ×4, first 2 shown]
	v_add_f64 v[24:25], v[64:65], v[124:125]
	v_add_f64 v[32:33], v[64:65], -v[124:125]
	v_add_f64 v[6:7], v[60:61], v[56:57]
	v_add_f64 v[8:9], v[62:63], v[58:59]
	s_mov_b32 s30, 0x4267c47c
	s_mov_b32 s26, 0x66966769
	;; [unrolled: 1-line block ×10, first 2 shown]
	v_add_f64 v[0:1], v[0:1], v[64:65]
	v_add_f64 v[2:3], v[2:3], v[66:67]
	v_add_f64 v[158:159], v[150:151], -v[154:155]
	v_mul_f64 v[46:47], v[10:11], s[20:21]
	v_add_f64 v[156:157], v[148:149], -v[152:153]
	v_add_f64 v[162:163], v[138:139], -v[146:147]
	;; [unrolled: 1-line block ×5, first 2 shown]
	v_mul_f64 v[12:13], v[4:5], s[30:31]
	v_mul_f64 v[16:17], v[4:5], s[26:27]
	s_mov_b32 s28, 0x42a4c3d2
	s_mov_b32 s12, 0xe00740e9
	;; [unrolled: 1-line block ×8, first 2 shown]
	v_mul_f64 v[14:15], v[4:5], s[28:29]
	v_mul_f64 v[18:19], v[4:5], s[20:21]
	s_mov_b32 s18, 0x1ea71119
	v_add_f64 v[0:1], v[0:1], v[68:69]
	v_add_f64 v[2:3], v[2:3], v[70:71]
	s_mov_b32 s19, 0x3fe22d96
	v_fma_f64 v[60:61], v[8:9], s[22:23], v[46:47]
	v_fma_f64 v[46:47], v[8:9], s[22:23], -v[46:47]
	v_add_f64 v[160:161], v[132:133], v[140:141]
	v_add_f64 v[164:165], v[132:133], -v[140:141]
	v_add_f64 v[30:31], v[70:71], -v[130:131]
	v_mul_f64 v[42:43], v[10:11], s[28:29]
	v_mul_f64 v[44:45], v[10:11], s[26:27]
	v_fma_f64 v[22:23], v[6:7], s[2:3], -v[16:17]
	v_fma_f64 v[16:17], v[6:7], s[2:3], v[16:17]
	v_mul_f64 v[48:49], v[10:11], s[24:25]
	s_mov_b32 s41, 0x3fe5384d
	s_mov_b32 s40, s24
	;; [unrolled: 1-line block ×6, first 2 shown]
	v_fma_f64 v[20:21], v[6:7], s[18:19], -v[14:15]
	v_fma_f64 v[14:15], v[6:7], s[18:19], v[14:15]
	v_fma_f64 v[36:37], v[6:7], s[22:23], -v[18:19]
	v_add_f64 v[0:1], v[0:1], v[132:133]
	v_add_f64 v[2:3], v[2:3], v[134:135]
	v_fma_f64 v[18:19], v[6:7], s[22:23], v[18:19]
	v_add_f64 v[60:61], v[54:55], v[60:61]
	v_add_f64 v[167:168], v[54:55], v[46:47]
	s_mov_b32 s43, 0x3fedeba7
	s_mov_b32 s42, s20
	;; [unrolled: 1-line block ×6, first 2 shown]
	v_add_f64 v[132:133], v[52:53], v[16:17]
	v_fma_f64 v[62:63], v[8:9], s[16:17], v[48:49]
	v_fma_f64 v[48:49], v[8:9], s[16:17], -v[48:49]
	v_add_f64 v[170:171], v[106:107], -v[78:79]
	v_add_f64 v[218:219], v[102:103], -v[74:75]
	v_add_f64 v[216:217], v[100:101], v[72:73]
	v_add_f64 v[178:179], v[104:105], v[76:77]
	v_add_f64 v[250:251], v[100:101], -v[72:73]
	v_add_f64 v[234:235], v[102:103], v[74:75]
	v_add_f64 v[14:15], v[52:53], v[14:15]
	;; [unrolled: 3-line block ×3, first 2 shown]
	v_add_f64 v[196:197], v[106:107], v[78:79]
	v_add_f64 v[184:185], v[110:111], -v[86:87]
	v_add_f64 v[180:181], v[108:109], v[84:85]
	v_add_f64 v[208:209], v[108:109], -v[84:85]
	v_add_f64 v[190:191], v[110:111], v[86:87]
	v_add_f64 v[214:215], v[116:117], -v[88:89]
	v_add_f64 v[172:173], v[118:119], v[90:91]
	v_add_f64 v[224:225], v[120:121], -v[92:93]
	v_add_f64 v[242:243], v[112:113], -v[96:97]
	v_mul_f64 v[230:231], v[170:171], s[20:21]
	v_mul_f64 v[220:221], v[218:219], s[30:31]
	v_mul_f64 v[236:237], v[250:251], s[30:31]
	v_mul_f64 v[240:241], v[204:205], s[20:21]
	v_add_f64 v[0:1], v[0:1], v[148:149]
	v_add_f64 v[2:3], v[2:3], v[150:151]
	v_add_f64 v[148:149], v[148:149], v[152:153]
	v_add_f64 v[150:151], v[150:151], v[154:155]
	v_mul_f64 v[222:223], v[184:185], s[34:35]
	v_mul_f64 v[228:229], v[208:209], s[34:35]
	;; [unrolled: 1-line block ×8, first 2 shown]
	v_add_f64 v[0:1], v[0:1], v[152:153]
	v_add_f64 v[2:3], v[2:3], v[154:155]
	v_add_f64 v[154:155], v[136:137], -v[144:145]
	v_add_f64 v[152:153], v[136:137], v[144:145]
	v_add_f64 v[136:137], v[52:53], v[36:37]
	;; [unrolled: 1-line block ×18, first 2 shown]
	v_mul_f64 v[0:1], v[4:5], s[24:25]
	v_add_f64 v[126:127], v[2:3], v[58:59]
	v_mul_f64 v[2:3], v[4:5], s[34:35]
	v_fma_f64 v[4:5], v[6:7], s[12:13], -v[12:13]
	v_fma_f64 v[12:13], v[6:7], s[12:13], v[12:13]
	v_fma_f64 v[56:57], v[8:9], s[18:19], v[42:43]
	v_fma_f64 v[42:43], v[8:9], s[18:19], -v[42:43]
	v_fma_f64 v[58:59], v[8:9], s[2:3], v[44:45]
	v_fma_f64 v[44:45], v[8:9], s[2:3], -v[44:45]
	v_fma_f64 v[38:39], v[6:7], s[16:17], -v[0:1]
	v_fma_f64 v[0:1], v[6:7], s[16:17], v[0:1]
	v_fma_f64 v[40:41], v[6:7], s[4:5], -v[2:3]
	v_fma_f64 v[2:3], v[6:7], s[4:5], v[2:3]
	v_mul_f64 v[6:7], v[10:11], s[30:31]
	v_mul_f64 v[10:11], v[10:11], s[34:35]
	v_add_f64 v[4:5], v[52:53], v[4:5]
	v_add_f64 v[12:13], v[52:53], v[12:13]
	;; [unrolled: 1-line block ×9, first 2 shown]
	v_mul_f64 v[0:1], v[34:35], s[28:29]
	v_add_f64 v[38:39], v[52:53], v[2:3]
	v_fma_f64 v[50:51], v[8:9], s[12:13], v[6:7]
	v_fma_f64 v[6:7], v[8:9], s[12:13], -v[6:7]
	v_fma_f64 v[64:65], v[8:9], s[4:5], v[10:11]
	v_fma_f64 v[8:9], v[8:9], s[4:5], -v[10:11]
	v_add_f64 v[42:43], v[52:53], v[40:41]
	v_fma_f64 v[2:3], v[24:25], s[18:19], -v[0:1]
	v_fma_f64 v[0:1], v[24:25], s[18:19], v[0:1]
	v_add_f64 v[10:11], v[54:55], v[50:51]
	v_add_f64 v[50:51], v[52:53], v[20:21]
	;; [unrolled: 1-line block ×7, first 2 shown]
	v_mul_f64 v[4:5], v[32:33], s[28:29]
	v_add_f64 v[0:1], v[0:1], v[12:13]
	v_mul_f64 v[12:13], v[32:33], s[20:21]
	v_fma_f64 v[8:9], v[68:69], s[18:19], v[4:5]
	v_fma_f64 v[4:5], v[68:69], s[18:19], -v[4:5]
	v_add_f64 v[8:9], v[8:9], v[10:11]
	v_mul_f64 v[10:11], v[30:31], s[26:27]
	v_add_f64 v[4:5], v[4:5], v[6:7]
	v_fma_f64 v[16:17], v[142:143], s[2:3], -v[10:11]
	v_fma_f64 v[6:7], v[142:143], s[2:3], v[10:11]
	v_add_f64 v[2:3], v[16:17], v[2:3]
	v_mul_f64 v[16:17], v[28:29], s[26:27]
	v_add_f64 v[0:1], v[6:7], v[0:1]
	v_fma_f64 v[18:19], v[140:141], s[2:3], v[16:17]
	v_fma_f64 v[6:7], v[140:141], s[2:3], -v[16:17]
	v_mul_f64 v[16:17], v[30:31], s[34:35]
	v_add_f64 v[8:9], v[18:19], v[8:9]
	v_mul_f64 v[18:19], v[26:27], s[20:21]
	v_add_f64 v[4:5], v[6:7], v[4:5]
	v_fma_f64 v[10:11], v[142:143], s[4:5], -v[16:17]
	v_fma_f64 v[48:49], v[160:161], s[22:23], -v[18:19]
	v_fma_f64 v[6:7], v[160:161], s[22:23], v[18:19]
	v_mul_f64 v[18:19], v[28:29], s[34:35]
	v_add_f64 v[2:3], v[48:49], v[2:3]
	v_mul_f64 v[48:49], v[164:165], s[20:21]
	v_add_f64 v[0:1], v[6:7], v[0:1]
	v_fma_f64 v[52:53], v[146:147], s[22:23], v[48:49]
	v_fma_f64 v[6:7], v[146:147], s[22:23], -v[48:49]
	v_mul_f64 v[48:49], v[26:27], s[40:41]
	v_add_f64 v[8:9], v[52:53], v[8:9]
	v_mul_f64 v[52:53], v[162:163], s[24:25]
	v_add_f64 v[4:5], v[6:7], v[4:5]
	v_fma_f64 v[54:55], v[152:153], s[16:17], -v[52:53]
	v_fma_f64 v[6:7], v[152:153], s[16:17], v[52:53]
	v_mul_f64 v[52:53], v[162:163], s[36:37]
	v_add_f64 v[2:3], v[54:55], v[2:3]
	v_mul_f64 v[54:55], v[154:155], s[24:25]
	v_add_f64 v[0:1], v[6:7], v[0:1]
	v_fma_f64 v[62:63], v[144:145], s[16:17], v[54:55]
	v_fma_f64 v[6:7], v[144:145], s[16:17], -v[54:55]
	v_mul_f64 v[54:55], v[154:155], s[36:37]
	v_add_f64 v[8:9], v[62:63], v[8:9]
	v_mul_f64 v[62:63], v[158:159], s[34:35]
	v_add_f64 v[4:5], v[6:7], v[4:5]
	v_fma_f64 v[64:65], v[148:149], s[4:5], -v[62:63]
	v_fma_f64 v[6:7], v[148:149], s[4:5], v[62:63]
	v_add_f64 v[128:129], v[64:65], v[2:3]
	v_mul_f64 v[2:3], v[156:157], s[34:35]
	v_add_f64 v[0:1], v[6:7], v[0:1]
	v_fma_f64 v[64:65], v[150:151], s[4:5], v[2:3]
	v_fma_f64 v[2:3], v[150:151], s[4:5], -v[2:3]
	v_add_f64 v[130:131], v[64:65], v[8:9]
	v_add_f64 v[2:3], v[2:3], v[4:5]
	v_mul_f64 v[4:5], v[34:35], s[20:21]
	v_fma_f64 v[8:9], v[68:69], s[22:23], v[12:13]
	v_fma_f64 v[12:13], v[68:69], s[22:23], -v[12:13]
	v_mul_f64 v[64:65], v[158:159], s[24:25]
	v_fma_f64 v[6:7], v[24:25], s[22:23], -v[4:5]
	v_add_f64 v[8:9], v[8:9], v[56:57]
	v_fma_f64 v[4:5], v[24:25], s[22:23], v[4:5]
	v_add_f64 v[12:13], v[12:13], v[66:67]
	v_mul_f64 v[56:57], v[158:159], s[38:39]
	v_add_f64 v[6:7], v[6:7], v[50:51]
	v_mul_f64 v[50:51], v[164:165], s[40:41]
	v_add_f64 v[4:5], v[4:5], v[14:15]
	v_fma_f64 v[14:15], v[142:143], s[4:5], v[16:17]
	v_add_f64 v[6:7], v[10:11], v[6:7]
	v_fma_f64 v[10:11], v[140:141], s[4:5], v[18:19]
	v_add_f64 v[4:5], v[14:15], v[4:5]
	v_fma_f64 v[14:15], v[140:141], s[4:5], -v[18:19]
	v_add_f64 v[8:9], v[10:11], v[8:9]
	v_fma_f64 v[10:11], v[160:161], s[16:17], -v[48:49]
	v_add_f64 v[12:13], v[14:15], v[12:13]
	v_fma_f64 v[14:15], v[160:161], s[16:17], v[48:49]
	v_mul_f64 v[48:49], v[32:33], s[34:35]
	v_add_f64 v[6:7], v[10:11], v[6:7]
	v_fma_f64 v[10:11], v[146:147], s[16:17], v[50:51]
	v_add_f64 v[4:5], v[14:15], v[4:5]
	v_fma_f64 v[14:15], v[146:147], s[16:17], -v[50:51]
	v_mul_f64 v[50:51], v[30:31], s[42:43]
	v_fma_f64 v[16:17], v[68:69], s[4:5], v[48:49]
	v_fma_f64 v[48:49], v[68:69], s[4:5], -v[48:49]
	v_add_f64 v[8:9], v[10:11], v[8:9]
	v_fma_f64 v[10:11], v[152:153], s[2:3], -v[52:53]
	v_add_f64 v[12:13], v[14:15], v[12:13]
	v_fma_f64 v[14:15], v[152:153], s[2:3], v[52:53]
	v_fma_f64 v[18:19], v[142:143], s[22:23], -v[50:51]
	v_mul_f64 v[52:53], v[28:29], s[42:43]
	v_add_f64 v[16:17], v[16:17], v[58:59]
	v_fma_f64 v[50:51], v[142:143], s[22:23], v[50:51]
	v_mul_f64 v[58:59], v[162:163], s[28:29]
	v_add_f64 v[48:49], v[48:49], v[134:135]
	v_add_f64 v[6:7], v[10:11], v[6:7]
	v_fma_f64 v[10:11], v[144:145], s[2:3], v[54:55]
	v_add_f64 v[4:5], v[14:15], v[4:5]
	v_fma_f64 v[14:15], v[144:145], s[2:3], -v[54:55]
	v_mul_f64 v[54:55], v[26:27], s[38:39]
	v_add_f64 v[10:11], v[10:11], v[8:9]
	v_fma_f64 v[8:9], v[148:149], s[12:13], -v[56:57]
	v_add_f64 v[12:13], v[14:15], v[12:13]
	v_fma_f64 v[14:15], v[148:149], s[12:13], v[56:57]
	v_mul_f64 v[56:57], v[164:165], s[38:39]
	v_add_f64 v[8:9], v[8:9], v[6:7]
	v_mul_f64 v[6:7], v[156:157], s[38:39]
	v_add_f64 v[4:5], v[14:15], v[4:5]
	v_fma_f64 v[62:63], v[150:151], s[12:13], v[6:7]
	v_fma_f64 v[6:7], v[150:151], s[12:13], -v[6:7]
	v_add_f64 v[10:11], v[62:63], v[10:11]
	v_add_f64 v[6:7], v[6:7], v[12:13]
	v_mul_f64 v[12:13], v[34:35], s[34:35]
	v_mul_f64 v[62:63], v[154:155], s[28:29]
	v_fma_f64 v[14:15], v[24:25], s[4:5], -v[12:13]
	v_fma_f64 v[12:13], v[24:25], s[4:5], v[12:13]
	v_add_f64 v[14:15], v[14:15], v[70:71]
	v_add_f64 v[12:13], v[12:13], v[132:133]
	;; [unrolled: 1-line block ×3, first 2 shown]
	v_fma_f64 v[18:19], v[140:141], s[22:23], v[52:53]
	v_add_f64 v[12:13], v[50:51], v[12:13]
	v_fma_f64 v[50:51], v[140:141], s[22:23], -v[52:53]
	v_mul_f64 v[52:53], v[32:33], s[40:41]
	v_add_f64 v[16:17], v[18:19], v[16:17]
	v_fma_f64 v[18:19], v[160:161], s[12:13], -v[54:55]
	v_add_f64 v[48:49], v[50:51], v[48:49]
	v_fma_f64 v[50:51], v[160:161], s[12:13], v[54:55]
	v_fma_f64 v[54:55], v[68:69], s[16:17], v[52:53]
	v_fma_f64 v[52:53], v[68:69], s[16:17], -v[52:53]
	v_add_f64 v[14:15], v[18:19], v[14:15]
	v_fma_f64 v[18:19], v[146:147], s[12:13], v[56:57]
	v_add_f64 v[12:13], v[50:51], v[12:13]
	v_fma_f64 v[50:51], v[146:147], s[12:13], -v[56:57]
	v_mul_f64 v[56:57], v[30:31], s[38:39]
	v_add_f64 v[54:55], v[54:55], v[60:61]
	v_add_f64 v[52:53], v[52:53], v[167:168]
	v_add_f64 v[168:169], v[118:119], -v[90:91]
	v_add_f64 v[16:17], v[18:19], v[16:17]
	v_fma_f64 v[18:19], v[152:153], s[18:19], -v[58:59]
	v_add_f64 v[48:49], v[50:51], v[48:49]
	v_fma_f64 v[50:51], v[152:153], s[18:19], v[58:59]
	v_fma_f64 v[58:59], v[142:143], s[12:13], -v[56:57]
	v_mul_f64 v[210:211], v[168:169], s[40:41]
	v_mul_f64 v[244:245], v[168:169], s[38:39]
	v_add_f64 v[14:15], v[18:19], v[14:15]
	v_fma_f64 v[18:19], v[144:145], s[18:19], v[62:63]
	v_add_f64 v[12:13], v[50:51], v[12:13]
	v_fma_f64 v[50:51], v[144:145], s[18:19], -v[62:63]
	v_add_f64 v[18:19], v[18:19], v[16:17]
	v_fma_f64 v[16:17], v[148:149], s[16:17], -v[64:65]
	v_add_f64 v[48:49], v[50:51], v[48:49]
	v_fma_f64 v[50:51], v[148:149], s[16:17], v[64:65]
	v_add_f64 v[16:17], v[16:17], v[14:15]
	v_mul_f64 v[14:15], v[156:157], s[24:25]
	v_add_f64 v[12:13], v[50:51], v[12:13]
	v_fma_f64 v[66:67], v[150:151], s[16:17], v[14:15]
	v_fma_f64 v[14:15], v[150:151], s[16:17], -v[14:15]
	v_add_f64 v[18:19], v[66:67], v[18:19]
	v_add_f64 v[14:15], v[14:15], v[48:49]
	v_mul_f64 v[48:49], v[34:35], s[40:41]
	v_fma_f64 v[50:51], v[24:25], s[16:17], -v[48:49]
	v_fma_f64 v[48:49], v[24:25], s[16:17], v[48:49]
	v_add_f64 v[50:51], v[50:51], v[136:137]
	v_add_f64 v[48:49], v[48:49], v[138:139]
	;; [unrolled: 1-line block ×3, first 2 shown]
	v_mul_f64 v[58:59], v[28:29], s[38:39]
	v_fma_f64 v[60:61], v[140:141], s[12:13], v[58:59]
	v_add_f64 v[54:55], v[60:61], v[54:55]
	v_mul_f64 v[60:61], v[26:27], s[26:27]
	v_fma_f64 v[62:63], v[160:161], s[2:3], -v[60:61]
	v_add_f64 v[50:51], v[62:63], v[50:51]
	v_mul_f64 v[62:63], v[164:165], s[26:27]
	v_fma_f64 v[64:65], v[146:147], s[2:3], v[62:63]
	v_add_f64 v[54:55], v[64:65], v[54:55]
	v_mul_f64 v[64:65], v[162:163], s[46:47]
	v_fma_f64 v[66:67], v[152:153], s[4:5], -v[64:65]
	v_add_f64 v[50:51], v[66:67], v[50:51]
	;; [unrolled: 6-line block ×3, first 2 shown]
	v_mul_f64 v[50:51], v[156:157], s[44:45]
	v_fma_f64 v[134:135], v[150:151], s[18:19], v[50:51]
	v_fma_f64 v[50:51], v[150:151], s[18:19], -v[50:51]
	v_add_f64 v[134:135], v[134:135], v[54:55]
	v_fma_f64 v[54:55], v[142:143], s[12:13], v[56:57]
	v_add_f64 v[48:49], v[54:55], v[48:49]
	v_fma_f64 v[54:55], v[140:141], s[12:13], -v[58:59]
	v_add_f64 v[52:53], v[54:55], v[52:53]
	v_fma_f64 v[54:55], v[160:161], s[2:3], v[60:61]
	v_add_f64 v[48:49], v[54:55], v[48:49]
	v_fma_f64 v[54:55], v[146:147], s[2:3], -v[62:63]
	v_add_f64 v[52:53], v[54:55], v[52:53]
	v_fma_f64 v[54:55], v[152:153], s[4:5], v[64:65]
	v_add_f64 v[48:49], v[54:55], v[48:49]
	v_fma_f64 v[54:55], v[144:145], s[4:5], -v[66:67]
	v_add_f64 v[52:53], v[54:55], v[52:53]
	v_fma_f64 v[54:55], v[148:149], s[18:19], v[70:71]
	v_mul_f64 v[70:71], v[250:251], s[20:21]
	v_add_f64 v[138:139], v[50:51], v[52:53]
	v_add_f64 v[136:137], v[54:55], v[48:49]
	v_mul_f64 v[48:49], v[34:35], s[36:37]
	v_fma_f64 v[50:51], v[24:25], s[2:3], -v[48:49]
	v_add_f64 v[22:23], v[50:51], v[22:23]
	v_mul_f64 v[50:51], v[32:33], s[36:37]
	v_mul_f64 v[32:33], v[32:33], s[38:39]
	v_fma_f64 v[52:53], v[68:69], s[2:3], v[50:51]
	v_add_f64 v[20:21], v[52:53], v[20:21]
	v_mul_f64 v[52:53], v[30:31], s[28:29]
	v_mul_f64 v[30:31], v[30:31], s[24:25]
	v_fma_f64 v[54:55], v[142:143], s[18:19], -v[52:53]
	v_add_f64 v[22:23], v[54:55], v[22:23]
	v_mul_f64 v[54:55], v[28:29], s[28:29]
	v_mul_f64 v[28:29], v[28:29], s[24:25]
	v_fma_f64 v[56:57], v[140:141], s[18:19], v[54:55]
	v_add_f64 v[20:21], v[56:57], v[20:21]
	v_mul_f64 v[56:57], v[26:27], s[46:47]
	v_mul_f64 v[26:27], v[26:27], s[44:45]
	v_fma_f64 v[58:59], v[160:161], s[4:5], -v[56:57]
	v_add_f64 v[22:23], v[58:59], v[22:23]
	v_mul_f64 v[58:59], v[164:165], s[46:47]
	v_fma_f64 v[60:61], v[146:147], s[4:5], v[58:59]
	v_add_f64 v[20:21], v[60:61], v[20:21]
	v_mul_f64 v[60:61], v[162:163], s[38:39]
	v_fma_f64 v[62:63], v[152:153], s[12:13], -v[60:61]
	v_add_f64 v[22:23], v[62:63], v[22:23]
	v_mul_f64 v[62:63], v[154:155], s[38:39]
	v_fma_f64 v[64:65], v[144:145], s[12:13], v[62:63]
	v_add_f64 v[20:21], v[64:65], v[20:21]
	v_mul_f64 v[64:65], v[158:159], s[20:21]
	v_fma_f64 v[66:67], v[148:149], s[22:23], -v[64:65]
	v_add_f64 v[174:175], v[66:67], v[22:23]
	v_mul_f64 v[22:23], v[156:157], s[20:21]
	v_fma_f64 v[66:67], v[150:151], s[22:23], v[22:23]
	v_fma_f64 v[22:23], v[150:151], s[22:23], -v[22:23]
	v_add_f64 v[176:177], v[66:67], v[20:21]
	v_fma_f64 v[20:21], v[24:25], s[2:3], v[48:49]
	v_mul_f64 v[48:49], v[204:205], s[40:41]
	v_mul_f64 v[66:67], v[208:209], s[28:29]
	v_add_f64 v[20:21], v[20:21], v[46:47]
	v_fma_f64 v[46:47], v[68:69], s[2:3], -v[50:51]
	v_mul_f64 v[50:51], v[208:209], s[38:39]
	v_add_f64 v[44:45], v[46:47], v[44:45]
	v_fma_f64 v[46:47], v[142:143], s[18:19], v[52:53]
	v_add_f64 v[20:21], v[46:47], v[20:21]
	v_fma_f64 v[46:47], v[140:141], s[18:19], -v[54:55]
	v_add_f64 v[44:45], v[46:47], v[44:45]
	v_fma_f64 v[46:47], v[160:161], s[4:5], v[56:57]
	v_mul_f64 v[56:57], v[218:219], s[26:27]
	v_add_f64 v[20:21], v[46:47], v[20:21]
	v_fma_f64 v[46:47], v[146:147], s[4:5], -v[58:59]
	v_mul_f64 v[58:59], v[250:251], s[26:27]
	v_add_f64 v[44:45], v[46:47], v[44:45]
	v_fma_f64 v[46:47], v[152:153], s[12:13], v[60:61]
	v_mul_f64 v[60:61], v[170:171], s[36:37]
	v_add_f64 v[20:21], v[46:47], v[20:21]
	v_fma_f64 v[46:47], v[144:145], s[12:13], -v[62:63]
	v_mul_f64 v[62:63], v[184:185], s[28:29]
	v_add_f64 v[44:45], v[46:47], v[44:45]
	v_fma_f64 v[46:47], v[148:149], s[22:23], v[64:65]
	v_mul_f64 v[64:65], v[204:205], s[36:37]
	v_add_f64 v[188:189], v[22:23], v[44:45]
	v_add_f64 v[186:187], v[46:47], v[20:21]
	v_mul_f64 v[20:21], v[34:35], s[38:39]
	v_fma_f64 v[34:35], v[68:69], s[12:13], v[32:33]
	v_fma_f64 v[32:33], v[68:69], s[12:13], -v[32:33]
	v_mul_f64 v[68:69], v[218:219], s[20:21]
	v_fma_f64 v[52:53], v[196:197], s[2:3], -v[64:65]
	v_fma_f64 v[22:23], v[24:25], s[12:13], -v[20:21]
	v_add_f64 v[34:35], v[34:35], v[40:41]
	v_fma_f64 v[40:41], v[142:143], s[16:17], -v[30:31]
	v_fma_f64 v[20:21], v[24:25], s[12:13], v[20:21]
	v_mul_f64 v[24:25], v[164:165], s[44:45]
	v_fma_f64 v[30:31], v[142:143], s[16:17], v[30:31]
	v_add_f64 v[32:33], v[32:33], v[36:37]
	v_add_f64 v[164:165], v[116:117], v[88:89]
	;; [unrolled: 1-line block ×4, first 2 shown]
	v_mul_f64 v[42:43], v[250:251], s[28:29]
	v_add_f64 v[20:21], v[20:21], v[38:39]
	v_mul_f64 v[38:39], v[162:163], s[20:21]
	v_add_f64 v[22:23], v[40:41], v[22:23]
	v_fma_f64 v[40:41], v[140:141], s[16:17], v[28:29]
	v_fma_f64 v[28:29], v[140:141], s[16:17], -v[28:29]
	v_add_f64 v[20:21], v[30:31], v[20:21]
	v_mul_f64 v[30:31], v[154:155], s[20:21]
	v_mul_f64 v[140:141], v[204:205], s[28:29]
	v_add_f64 v[154:155], v[122:123], -v[94:95]
	v_add_f64 v[34:35], v[40:41], v[34:35]
	v_fma_f64 v[40:41], v[160:161], s[18:19], -v[26:27]
	v_fma_f64 v[26:27], v[160:161], s[18:19], v[26:27]
	v_add_f64 v[28:29], v[28:29], v[32:33]
	v_fma_f64 v[36:37], v[144:145], s[22:23], v[30:31]
	v_fma_f64 v[30:31], v[144:145], s[22:23], -v[30:31]
	v_mul_f64 v[32:33], v[156:157], s[36:37]
	v_mul_f64 v[144:145], v[208:209], s[26:27]
	v_add_f64 v[156:157], v[122:123], v[94:95]
	v_mul_f64 v[226:227], v[154:155], s[28:29]
	v_add_f64 v[22:23], v[40:41], v[22:23]
	v_fma_f64 v[40:41], v[146:147], s[18:19], v[24:25]
	v_fma_f64 v[24:25], v[146:147], s[18:19], -v[24:25]
	v_add_f64 v[20:21], v[26:27], v[20:21]
	v_mul_f64 v[26:27], v[158:159], s[36:37]
	v_add_f64 v[146:147], v[114:115], -v[98:99]
	v_add_f64 v[34:35], v[40:41], v[34:35]
	v_fma_f64 v[40:41], v[152:153], s[22:23], -v[38:39]
	v_add_f64 v[24:25], v[24:25], v[28:29]
	v_fma_f64 v[28:29], v[148:149], s[2:3], -v[26:27]
	v_mul_f64 v[202:203], v[146:147], s[44:45]
	v_add_f64 v[34:35], v[36:37], v[34:35]
	v_add_f64 v[22:23], v[40:41], v[22:23]
	v_fma_f64 v[36:37], v[152:153], s[22:23], v[38:39]
	v_fma_f64 v[38:39], v[150:151], s[2:3], v[32:33]
	v_add_f64 v[152:153], v[114:115], v[98:99]
	v_mul_f64 v[40:41], v[184:185], s[38:39]
	v_add_f64 v[158:159], v[28:29], v[22:23]
	v_add_f64 v[22:23], v[30:31], v[24:25]
	v_mul_f64 v[30:31], v[170:171], s[28:29]
	buffer_store_dword v30, off, s[48:51], 0 offset:492 ; 4-byte Folded Spill
	buffer_store_dword v31, off, s[48:51], 0 offset:496 ; 4-byte Folded Spill
	v_add_f64 v[20:21], v[36:37], v[20:21]
	v_fma_f64 v[24:25], v[148:149], s[2:3], v[26:27]
	v_fma_f64 v[26:27], v[150:151], s[2:3], -v[32:33]
	v_fma_f64 v[28:29], v[216:217], s[12:13], v[220:221]
	v_add_f64 v[148:149], v[120:121], v[92:93]
	v_add_f64 v[160:161], v[38:39], v[34:35]
	v_mul_f64 v[38:39], v[218:219], s[28:29]
	v_mul_f64 v[150:151], v[224:225], s[36:37]
	;; [unrolled: 1-line block ×4, first 2 shown]
	v_add_f64 v[192:193], v[24:25], v[20:21]
	v_add_f64 v[194:195], v[26:27], v[22:23]
	;; [unrolled: 1-line block ×3, first 2 shown]
	v_fma_f64 v[24:25], v[196:197], s[18:19], -v[140:141]
	v_mul_f64 v[28:29], v[204:205], s[34:35]
	v_fma_f64 v[22:23], v[178:179], s[18:19], v[30:31]
	v_add_f64 v[20:21], v[22:23], v[20:21]
	v_fma_f64 v[22:23], v[234:235], s[12:13], -v[236:237]
	v_add_f64 v[22:23], v[82:83], v[22:23]
	v_add_f64 v[22:23], v[24:25], v[22:23]
	v_mul_f64 v[24:25], v[184:185], s[26:27]
	buffer_store_dword v24, off, s[48:51], 0 offset:476 ; 4-byte Folded Spill
	buffer_store_dword v25, off, s[48:51], 0 offset:480 ; 4-byte Folded Spill
	v_fma_f64 v[24:25], v[180:181], s[2:3], v[24:25]
	v_add_f64 v[20:21], v[24:25], v[20:21]
	v_fma_f64 v[24:25], v[190:191], s[2:3], -v[144:145]
	v_add_f64 v[22:23], v[24:25], v[22:23]
	v_mul_f64 v[24:25], v[168:169], s[20:21]
	buffer_store_dword v24, off, s[48:51], 0 offset:428 ; 4-byte Folded Spill
	buffer_store_dword v25, off, s[48:51], 0 offset:432 ; 4-byte Folded Spill
	v_fma_f64 v[24:25], v[164:165], s[22:23], v[24:25]
	v_add_f64 v[20:21], v[24:25], v[20:21]
	v_mul_f64 v[24:25], v[214:215], s[20:21]
	buffer_store_dword v24, off, s[48:51], 0 offset:444 ; 4-byte Folded Spill
	buffer_store_dword v25, off, s[48:51], 0 offset:448 ; 4-byte Folded Spill
	v_fma_f64 v[24:25], v[172:173], s[22:23], -v[24:25]
	v_add_f64 v[22:23], v[24:25], v[22:23]
	v_mul_f64 v[24:25], v[154:155], s[24:25]
	buffer_store_dword v24, off, s[48:51], 0 offset:364 ; 4-byte Folded Spill
	buffer_store_dword v25, off, s[48:51], 0 offset:368 ; 4-byte Folded Spill
	v_fma_f64 v[24:25], v[148:149], s[16:17], v[24:25]
	v_add_f64 v[20:21], v[24:25], v[20:21]
	v_mul_f64 v[24:25], v[224:225], s[24:25]
	buffer_store_dword v24, off, s[48:51], 0 offset:380 ; 4-byte Folded Spill
	buffer_store_dword v25, off, s[48:51], 0 offset:384 ; 4-byte Folded Spill
	;; [unrolled: 10-line block ×3, first 2 shown]
	v_fma_f64 v[20:21], v[152:153], s[4:5], -v[20:21]
	v_add_f64 v[26:27], v[20:21], v[22:23]
	v_fma_f64 v[20:21], v[216:217], s[18:19], v[38:39]
	v_fma_f64 v[22:23], v[178:179], s[22:23], v[230:231]
	buffer_store_dword v24, off, s[48:51], 0 offset:8 ; 4-byte Folded Spill
	buffer_store_dword v25, off, s[48:51], 0 offset:12 ; 4-byte Folded Spill
	;; [unrolled: 1-line block ×4, first 2 shown]
	v_add_f64 v[20:21], v[80:81], v[20:21]
	v_fma_f64 v[24:25], v[196:197], s[22:23], -v[240:241]
	v_add_f64 v[20:21], v[22:23], v[20:21]
	v_fma_f64 v[22:23], v[234:235], s[18:19], -v[42:43]
	v_add_f64 v[22:23], v[82:83], v[22:23]
	v_add_f64 v[22:23], v[24:25], v[22:23]
	v_fma_f64 v[24:25], v[180:181], s[4:5], v[222:223]
	v_add_f64 v[20:21], v[24:25], v[20:21]
	v_fma_f64 v[24:25], v[190:191], s[4:5], -v[228:229]
	v_add_f64 v[22:23], v[24:25], v[22:23]
	v_fma_f64 v[24:25], v[164:165], s[16:17], v[210:211]
	v_add_f64 v[20:21], v[24:25], v[20:21]
	v_fma_f64 v[24:25], v[172:173], s[16:17], -v[212:213]
	v_add_f64 v[22:23], v[24:25], v[22:23]
	v_mul_f64 v[24:25], v[154:155], s[36:37]
	buffer_store_dword v24, off, s[48:51], 0 offset:508 ; 4-byte Folded Spill
	buffer_store_dword v25, off, s[48:51], 0 offset:512 ; 4-byte Folded Spill
	v_fma_f64 v[24:25], v[148:149], s[2:3], v[24:25]
	v_add_f64 v[20:21], v[24:25], v[20:21]
	v_fma_f64 v[24:25], v[156:157], s[2:3], -v[150:151]
	v_add_f64 v[22:23], v[24:25], v[22:23]
	v_mul_f64 v[24:25], v[146:147], s[38:39]
	buffer_store_dword v24, off, s[48:51], 0 offset:396 ; 4-byte Folded Spill
	buffer_store_dword v25, off, s[48:51], 0 offset:400 ; 4-byte Folded Spill
	v_fma_f64 v[24:25], v[142:143], s[12:13], v[24:25]
	v_add_f64 v[24:25], v[24:25], v[20:21]
	v_mul_f64 v[20:21], v[242:243], s[38:39]
	buffer_store_dword v20, off, s[48:51], 0 offset:412 ; 4-byte Folded Spill
	buffer_store_dword v21, off, s[48:51], 0 offset:416 ; 4-byte Folded Spill
	v_fma_f64 v[20:21], v[152:153], s[12:13], -v[20:21]
	v_add_f64 v[26:27], v[20:21], v[22:23]
	buffer_store_dword v24, off, s[48:51], 0 offset:24 ; 4-byte Folded Spill
	buffer_store_dword v25, off, s[48:51], 0 offset:28 ; 4-byte Folded Spill
	;; [unrolled: 1-line block ×4, first 2 shown]
	v_fma_f64 v[20:21], v[216:217], s[2:3], v[56:57]
	v_mul_f64 v[24:25], v[170:171], s[34:35]
	v_fma_f64 v[26:27], v[196:197], s[4:5], -v[28:29]
	v_add_f64 v[20:21], v[80:81], v[20:21]
	v_fma_f64 v[22:23], v[178:179], s[4:5], v[24:25]
	v_add_f64 v[20:21], v[22:23], v[20:21]
	v_fma_f64 v[22:23], v[234:235], s[2:3], -v[58:59]
	v_add_f64 v[22:23], v[82:83], v[22:23]
	v_add_f64 v[22:23], v[26:27], v[22:23]
	v_fma_f64 v[26:27], v[180:181], s[22:23], v[252:253]
	v_add_f64 v[20:21], v[26:27], v[20:21]
	v_fma_f64 v[26:27], v[190:191], s[22:23], -v[254:255]
	v_add_f64 v[22:23], v[26:27], v[22:23]
	v_fma_f64 v[26:27], v[164:165], s[12:13], v[244:245]
	v_add_f64 v[20:21], v[26:27], v[20:21]
	v_fma_f64 v[26:27], v[172:173], s[12:13], -v[246:247]
	;; [unrolled: 4-line block ×3, first 2 shown]
	v_add_f64 v[22:23], v[26:27], v[22:23]
	v_mul_f64 v[26:27], v[146:147], s[24:25]
	buffer_store_dword v26, off, s[48:51], 0 offset:460 ; 4-byte Folded Spill
	buffer_store_dword v27, off, s[48:51], 0 offset:464 ; 4-byte Folded Spill
	v_fma_f64 v[26:27], v[142:143], s[16:17], v[26:27]
	v_add_f64 v[30:31], v[26:27], v[20:21]
	v_mul_f64 v[20:21], v[242:243], s[24:25]
	buffer_store_dword v20, off, s[48:51], 0 offset:500 ; 4-byte Folded Spill
	buffer_store_dword v21, off, s[48:51], 0 offset:504 ; 4-byte Folded Spill
	v_fma_f64 v[26:27], v[196:197], s[16:17], -v[48:49]
	v_fma_f64 v[20:21], v[152:153], s[16:17], -v[20:21]
	v_add_f64 v[32:33], v[20:21], v[22:23]
	v_fma_f64 v[20:21], v[216:217], s[22:23], v[68:69]
	v_fma_f64 v[22:23], v[178:179], s[16:17], v[36:37]
	buffer_store_dword v30, off, s[48:51], 0 offset:40 ; 4-byte Folded Spill
	buffer_store_dword v31, off, s[48:51], 0 offset:44 ; 4-byte Folded Spill
	;; [unrolled: 1-line block ×4, first 2 shown]
	v_add_f64 v[20:21], v[80:81], v[20:21]
	v_mul_f64 v[32:33], v[168:169], s[26:27]
	v_add_f64 v[20:21], v[22:23], v[20:21]
	v_fma_f64 v[22:23], v[234:235], s[22:23], -v[70:71]
	v_add_f64 v[22:23], v[82:83], v[22:23]
	v_add_f64 v[22:23], v[26:27], v[22:23]
	v_fma_f64 v[26:27], v[180:181], s[12:13], v[40:41]
	v_add_f64 v[20:21], v[26:27], v[20:21]
	v_fma_f64 v[26:27], v[190:191], s[12:13], -v[50:51]
	v_add_f64 v[22:23], v[26:27], v[22:23]
	v_fma_f64 v[26:27], v[164:165], s[2:3], v[32:33]
	v_add_f64 v[20:21], v[26:27], v[20:21]
	v_fma_f64 v[26:27], v[172:173], s[2:3], -v[34:35]
	v_add_f64 v[22:23], v[26:27], v[22:23]
	v_mul_f64 v[26:27], v[154:155], s[46:47]
	v_fma_f64 v[30:31], v[148:149], s[4:5], v[26:27]
	v_add_f64 v[20:21], v[30:31], v[20:21]
	v_mul_f64 v[30:31], v[224:225], s[46:47]
	v_fma_f64 v[44:45], v[156:157], s[4:5], -v[30:31]
	v_add_f64 v[22:23], v[44:45], v[22:23]
	v_fma_f64 v[44:45], v[142:143], s[18:19], v[202:203]
	v_add_f64 v[44:45], v[44:45], v[20:21]
	v_fma_f64 v[20:21], v[152:153], s[18:19], -v[206:207]
	v_add_f64 v[46:47], v[20:21], v[22:23]
	v_mul_f64 v[20:21], v[218:219], s[24:25]
	buffer_store_dword v44, off, s[48:51], 0 offset:56 ; 4-byte Folded Spill
	buffer_store_dword v45, off, s[48:51], 0 offset:60 ; 4-byte Folded Spill
	buffer_store_dword v46, off, s[48:51], 0 offset:64 ; 4-byte Folded Spill
	buffer_store_dword v47, off, s[48:51], 0 offset:68 ; 4-byte Folded Spill
	v_fma_f64 v[22:23], v[216:217], s[16:17], v[20:21]
	v_fma_f64 v[44:45], v[178:179], s[2:3], v[60:61]
	v_add_f64 v[22:23], v[80:81], v[22:23]
	v_add_f64 v[44:45], v[44:45], v[22:23]
	v_mul_f64 v[22:23], v[250:251], s[24:25]
	v_fma_f64 v[46:47], v[234:235], s[16:17], -v[22:23]
	v_add_f64 v[46:47], v[82:83], v[46:47]
	v_add_f64 v[46:47], v[52:53], v[46:47]
	v_fma_f64 v[52:53], v[180:181], s[18:19], v[62:63]
	v_add_f64 v[44:45], v[52:53], v[44:45]
	v_fma_f64 v[52:53], v[190:191], s[18:19], -v[66:67]
	v_add_f64 v[46:47], v[52:53], v[46:47]
	v_mul_f64 v[52:53], v[168:169], s[46:47]
	v_fma_f64 v[54:55], v[164:165], s[4:5], v[52:53]
	v_add_f64 v[238:239], v[54:55], v[44:45]
	v_mul_f64 v[54:55], v[214:215], s[46:47]
	v_fma_f64 v[44:45], v[172:173], s[4:5], -v[54:55]
	v_add_f64 v[248:249], v[44:45], v[46:47]
	v_mul_f64 v[44:45], v[154:155], s[38:39]
	v_fma_f64 v[46:47], v[148:149], s[12:13], v[44:45]
	v_add_f64 v[182:183], v[46:47], v[238:239]
	v_mul_f64 v[46:47], v[224:225], s[38:39]
	;; [unrolled: 6-line block ×3, first 2 shown]
	v_fma_f64 v[182:183], v[152:153], s[22:23], -v[248:249]
	v_add_f64 v[200:201], v[182:183], v[162:163]
	buffer_store_dword v198, off, s[48:51], 0 offset:72 ; 4-byte Folded Spill
	buffer_store_dword v199, off, s[48:51], 0 offset:76 ; 4-byte Folded Spill
	;; [unrolled: 1-line block ×4, first 2 shown]
	s_clause 0x1
	buffer_load_dword v163, off, s[48:51], 0
	buffer_load_dword v167, off, s[48:51], 0 offset:4
	s_waitcnt vmcnt(0)
	s_waitcnt_vscnt null, 0x0
	s_barrier
	buffer_gl0_inv
	v_mul_lo_u16 v162, v163, 13
	v_lshlrev_b32_e32 v182, 4, v167
	v_and_b32_e32 v162, 0xffff, v162
	v_lshl_add_u32 v167, v162, 4, v182
	ds_write_b128 v167, v[124:127]
	ds_write_b128 v167, v[128:131] offset:16
	ds_write_b128 v167, v[8:11] offset:32
	;; [unrolled: 1-line block ×12, first 2 shown]
	v_add_co_u32 v0, null, v163, 13
	v_mov_b32_e32 v162, v182
	v_mul_u32_u24_e32 v0, 13, v0
	buffer_store_dword v0, off, s[48:51], 0 offset:324 ; 4-byte Folded Spill
	s_and_saveexec_b32 s33, vcc_lo
	s_cbranch_execz .LBB0_7
; %bb.6:
	v_add_f64 v[2:3], v[80:81], v[100:101]
	v_add_f64 v[0:1], v[82:83], v[102:103]
	v_mul_f64 v[10:11], v[216:217], s[16:17]
	v_mul_f64 v[8:9], v[234:235], s[16:17]
	;; [unrolled: 1-line block ×8, first 2 shown]
	s_clause 0x5
	buffer_load_dword v102, off, s[48:51], 0 offset:492
	buffer_load_dword v103, off, s[48:51], 0 offset:496
	;; [unrolled: 1-line block ×6, first 2 shown]
	v_mul_f64 v[128:129], v[172:173], s[16:17]
	v_mul_f64 v[132:133], v[172:173], s[22:23]
	;; [unrolled: 1-line block ×5, first 2 shown]
	v_add_f64 v[2:3], v[2:3], v[104:105]
	v_add_f64 v[0:1], v[0:1], v[106:107]
	v_add_f64 v[10:11], v[10:11], -v[20:21]
	v_mul_f64 v[20:21], v[234:235], s[18:19]
	v_add_f64 v[8:9], v[22:23], v[8:9]
	v_add_f64 v[16:17], v[58:59], v[16:17]
	v_mul_f64 v[22:23], v[216:217], s[18:19]
	v_mul_f64 v[58:59], v[216:217], s[12:13]
	v_fma_f64 v[6:7], v[250:251], s[46:47], v[4:5]
	v_fma_f64 v[4:5], v[250:251], s[34:35], v[4:5]
	v_add_f64 v[12:13], v[70:71], v[12:13]
	v_add_f64 v[14:15], v[14:15], -v[68:69]
	v_add_f64 v[18:19], v[18:19], -v[56:57]
	v_mul_f64 v[68:69], v[196:197], s[12:13]
	v_mul_f64 v[104:105], v[170:171], s[38:39]
	v_add_f64 v[24:25], v[100:101], -v[24:25]
	v_add_f64 v[128:129], v[212:213], v[128:129]
	v_mul_f64 v[100:101], v[178:179], s[18:19]
	v_add_f64 v[126:127], v[126:127], -v[244:245]
	v_add_f64 v[130:131], v[130:131], -v[210:211]
	v_add_f64 v[2:3], v[2:3], v[108:109]
	v_add_f64 v[0:1], v[0:1], v[110:111]
	v_mul_f64 v[108:109], v[178:179], s[16:17]
	v_add_f64 v[20:21], v[42:43], v[20:21]
	v_mul_f64 v[42:43], v[218:219], s[34:35]
	v_add_f64 v[10:11], v[80:81], v[10:11]
	v_add_f64 v[22:23], v[22:23], -v[38:39]
	v_mul_f64 v[38:39], v[234:235], s[12:13]
	v_add_f64 v[58:59], v[58:59], -v[220:221]
	v_add_f64 v[4:5], v[82:83], v[4:5]
	v_add_f64 v[12:13], v[82:83], v[12:13]
	;; [unrolled: 1-line block ×4, first 2 shown]
	v_fma_f64 v[70:71], v[204:205], s[30:31], v[68:69]
	v_fma_f64 v[68:69], v[204:205], s[38:39], v[68:69]
	;; [unrolled: 1-line block ×3, first 2 shown]
	v_add_f64 v[6:7], v[82:83], v[6:7]
	v_add_f64 v[8:9], v[82:83], v[8:9]
	;; [unrolled: 1-line block ×3, first 2 shown]
	v_mul_f64 v[110:111], v[180:181], s[22:23]
	v_fma_f64 v[104:105], v[178:179], s[12:13], -v[104:105]
	v_add_f64 v[2:3], v[2:3], v[116:117]
	v_add_f64 v[0:1], v[0:1], v[118:119]
	v_add_f64 v[36:37], v[108:109], -v[36:37]
	v_mul_f64 v[108:109], v[180:181], s[12:13]
	v_fma_f64 v[56:57], v[216:217], s[4:5], v[42:43]
	v_fma_f64 v[42:43], v[216:217], s[4:5], -v[42:43]
	v_add_f64 v[22:23], v[80:81], v[22:23]
	v_add_f64 v[38:39], v[236:237], v[38:39]
	;; [unrolled: 1-line block ×3, first 2 shown]
	v_mul_f64 v[118:119], v[184:185], s[24:25]
	v_add_f64 v[20:21], v[82:83], v[20:21]
	v_mul_f64 v[116:117], v[190:191], s[2:3]
	v_add_f64 v[18:19], v[24:25], v[18:19]
	v_add_f64 v[4:5], v[68:69], v[4:5]
	v_mul_f64 v[68:69], v[148:149], s[18:19]
	v_add_f64 v[6:7], v[70:71], v[6:7]
	v_mul_f64 v[70:71], v[152:153], s[4:5]
	v_add_f64 v[110:111], v[110:111], -v[252:253]
	v_add_f64 v[2:3], v[2:3], v[120:121]
	v_add_f64 v[0:1], v[0:1], v[122:123]
	;; [unrolled: 1-line block ×3, first 2 shown]
	v_add_f64 v[40:41], v[108:109], -v[40:41]
	v_add_f64 v[56:57], v[80:81], v[56:57]
	v_add_f64 v[42:43], v[80:81], v[42:43]
	v_mul_f64 v[80:81], v[190:191], s[16:17]
	v_add_f64 v[38:39], v[82:83], v[38:39]
	v_mul_f64 v[122:123], v[180:181], s[2:3]
	v_fma_f64 v[120:121], v[180:181], s[16:17], v[118:119]
	v_mul_f64 v[108:109], v[190:191], s[22:23]
	v_add_f64 v[116:117], v[144:145], v[116:117]
	v_mul_f64 v[144:145], v[156:157], s[12:13]
	v_fma_f64 v[118:119], v[180:181], s[16:17], -v[118:119]
	v_add_f64 v[68:69], v[68:69], -v[226:227]
	v_add_f64 v[18:19], v[110:111], v[18:19]
	v_add_f64 v[2:3], v[2:3], v[112:113]
	;; [unrolled: 1-line block ×3, first 2 shown]
	v_mul_f64 v[112:113], v[190:191], s[4:5]
	v_add_f64 v[14:15], v[40:41], v[14:15]
	v_add_f64 v[56:57], v[106:107], v[56:57]
	v_mul_f64 v[114:115], v[180:181], s[4:5]
	v_fma_f64 v[82:83], v[208:209], s[40:41], v[80:81]
	v_fma_f64 v[80:81], v[208:209], s[24:25], v[80:81]
	v_add_f64 v[42:43], v[104:105], v[42:43]
	v_add_f64 v[108:109], v[254:255], v[108:109]
	;; [unrolled: 1-line block ×3, first 2 shown]
	v_mul_f64 v[144:145], v[148:149], s[12:13]
	v_add_f64 v[18:19], v[126:127], v[18:19]
	v_add_f64 v[2:3], v[2:3], v[96:97]
	v_mul_f64 v[96:97], v[190:191], s[18:19]
	v_add_f64 v[0:1], v[0:1], v[98:99]
	v_mul_f64 v[98:99], v[196:197], s[18:19]
	v_add_f64 v[24:25], v[120:121], v[56:57]
	v_add_f64 v[112:113], v[228:229], v[112:113]
	;; [unrolled: 1-line block ×4, first 2 shown]
	v_add_f64 v[114:115], v[114:115], -v[222:223]
	v_add_f64 v[36:37], v[118:119], v[42:43]
	v_mul_f64 v[42:43], v[148:149], s[2:3]
	v_add_f64 v[44:45], v[144:145], -v[44:45]
	v_mul_f64 v[144:145], v[156:157], s[4:5]
	v_add_f64 v[2:3], v[2:3], v[92:93]
	v_add_f64 v[66:67], v[66:67], v[96:97]
	v_mul_f64 v[96:97], v[180:181], s[18:19]
	v_add_f64 v[98:99], v[140:141], v[98:99]
	s_clause 0x1
	buffer_load_dword v140, off, s[48:51], 0 offset:428
	buffer_load_dword v141, off, s[48:51], 0 offset:432
	v_mul_f64 v[92:93], v[196:197], s[2:3]
	v_add_f64 v[0:1], v[0:1], v[94:95]
	v_add_f64 v[30:31], v[30:31], v[144:145]
	v_mul_f64 v[144:145], v[148:149], s[4:5]
	v_add_f64 v[2:3], v[2:3], v[88:89]
	v_mul_f64 v[88:89], v[156:157], s[22:23]
	v_add_f64 v[62:63], v[96:97], -v[62:63]
	v_mul_f64 v[96:97], v[196:197], s[16:17]
	v_add_f64 v[38:39], v[98:99], v[38:39]
	v_add_f64 v[64:65], v[64:65], v[92:93]
	;; [unrolled: 1-line block ×3, first 2 shown]
	v_mul_f64 v[92:93], v[152:153], s[2:3]
	v_add_f64 v[26:27], v[144:145], -v[26:27]
	v_mul_f64 v[144:145], v[156:157], s[18:19]
	v_add_f64 v[2:3], v[2:3], v[84:85]
	v_mul_f64 v[84:85], v[172:173], s[18:19]
	v_fma_f64 v[90:91], v[224:225], s[42:43], v[88:89]
	v_add_f64 v[48:49], v[48:49], v[96:97]
	v_mul_f64 v[96:97], v[178:179], s[2:3]
	v_add_f64 v[8:9], v[64:65], v[8:9]
	v_add_f64 v[38:39], v[116:117], v[38:39]
	;; [unrolled: 1-line block ×3, first 2 shown]
	v_mul_f64 v[64:65], v[152:153], s[12:13]
	v_fma_f64 v[88:89], v[224:225], s[20:21], v[88:89]
	v_fma_f64 v[94:95], v[242:243], s[26:27], v[92:93]
	;; [unrolled: 1-line block ×3, first 2 shown]
	v_add_f64 v[144:145], v[232:233], v[144:145]
	v_fma_f64 v[86:87], v[214:215], s[28:29], v[84:85]
	v_fma_f64 v[84:85], v[214:215], s[44:45], v[84:85]
	v_add_f64 v[12:13], v[48:49], v[12:13]
	v_add_f64 v[60:61], v[96:97], -v[60:61]
	v_mul_f64 v[96:97], v[190:191], s[12:13]
	v_add_f64 v[8:9], v[66:67], v[8:9]
	v_mul_f64 v[66:67], v[142:143], s[12:13]
	v_add_f64 v[0:1], v[0:1], v[78:79]
	v_add_f64 v[6:7], v[86:87], v[6:7]
	;; [unrolled: 1-line block ×5, first 2 shown]
	v_mul_f64 v[96:97], v[196:197], s[4:5]
	v_mul_f64 v[60:61], v[152:153], s[16:17]
	v_add_f64 v[6:7], v[90:91], v[6:7]
	v_add_f64 v[4:5], v[88:89], v[4:5]
	;; [unrolled: 1-line block ×4, first 2 shown]
	s_clause 0x7
	buffer_load_dword v50, off, s[48:51], 0 offset:508
	buffer_load_dword v51, off, s[48:51], 0 offset:512
	;; [unrolled: 1-line block ×8, first 2 shown]
	v_add_f64 v[28:29], v[28:29], v[96:97]
	v_mul_f64 v[96:97], v[196:197], s[22:23]
	v_mul_f64 v[62:63], v[146:147], s[36:37]
	v_add_f64 v[16:17], v[28:29], v[16:17]
	v_add_f64 v[96:97], v[240:241], v[96:97]
	v_mul_f64 v[28:29], v[156:157], s[2:3]
	v_add_f64 v[16:17], v[108:109], v[16:17]
	v_add_f64 v[20:21], v[96:97], v[20:21]
	;; [unrolled: 1-line block ×3, first 2 shown]
	s_waitcnt vmcnt(14)
	v_add_f64 v[100:101], v[100:101], -v[102:103]
	s_waitcnt vmcnt(12)
	v_add_f64 v[122:123], v[122:123], -v[124:125]
	v_mul_f64 v[124:125], v[172:173], s[4:5]
	s_waitcnt vmcnt(10)
	v_add_f64 v[132:133], v[134:135], v[132:133]
	v_mul_f64 v[102:103], v[178:179], s[22:23]
	v_mul_f64 v[134:135], v[168:169], s[44:45]
	v_add_f64 v[20:21], v[112:113], v[20:21]
	v_add_f64 v[48:49], v[100:101], v[58:59]
	v_mul_f64 v[58:59], v[142:143], s[22:23]
	v_add_f64 v[54:55], v[54:55], v[124:125]
	v_mul_f64 v[124:125], v[164:165], s[4:5]
	v_add_f64 v[38:39], v[132:133], v[38:39]
	v_add_f64 v[102:103], v[102:103], -v[230:231]
	v_fma_f64 v[136:137], v[164:165], s[18:19], v[134:135]
	v_fma_f64 v[134:135], v[164:165], s[18:19], -v[134:135]
	v_add_f64 v[20:21], v[128:129], v[20:21]
	v_add_f64 v[48:49], v[122:123], v[48:49]
	v_add_f64 v[58:59], v[58:59], -v[238:239]
	v_add_f64 v[8:9], v[54:55], v[8:9]
	v_add_f64 v[52:53], v[124:125], -v[52:53]
	v_mul_f64 v[124:125], v[172:173], s[2:3]
	v_mul_f64 v[54:55], v[148:149], s[16:17]
	v_add_f64 v[22:23], v[102:103], v[22:23]
	v_add_f64 v[36:37], v[134:135], v[36:37]
	v_add_f64 v[24:25], v[136:137], v[24:25]
	v_add_f64 v[20:21], v[28:29], v[20:21]
	v_add_f64 v[8:9], v[46:47], v[8:9]
	v_mul_f64 v[46:47], v[142:143], s[16:17]
	v_add_f64 v[34:35], v[34:35], v[124:125]
	v_mul_f64 v[124:125], v[164:165], s[2:3]
	v_add_f64 v[22:23], v[114:115], v[22:23]
	v_add_f64 v[10:11], v[52:53], v[10:11]
	;; [unrolled: 1-line block ×3, first 2 shown]
	v_mul_f64 v[34:35], v[156:157], s[16:17]
	v_add_f64 v[32:33], v[124:125], -v[32:33]
	v_mul_f64 v[124:125], v[172:173], s[12:13]
	v_add_f64 v[22:23], v[130:131], v[22:23]
	v_add_f64 v[44:45], v[44:45], v[10:11]
	;; [unrolled: 1-line block ×3, first 2 shown]
	v_mul_f64 v[30:31], v[142:143], s[4:5]
	v_add_f64 v[14:15], v[32:33], v[14:15]
	v_mul_f64 v[32:33], v[152:153], s[18:19]
	v_add_f64 v[124:125], v[246:247], v[124:125]
	v_add_f64 v[32:33], v[206:207], v[32:33]
	;; [unrolled: 1-line block ×3, first 2 shown]
	s_waitcnt vmcnt(8)
	v_add_f64 v[138:139], v[138:139], -v[140:141]
	v_add_f64 v[16:17], v[144:145], v[16:17]
	v_add_f64 v[48:49], v[138:139], v[48:49]
	s_waitcnt vmcnt(6)
	v_add_f64 v[42:43], v[42:43], -v[50:51]
	s_waitcnt vmcnt(4)
	v_add_f64 v[34:35], v[40:41], v[34:35]
	s_waitcnt vmcnt(2)
	v_add_f64 v[54:55], v[54:55], -v[56:57]
	s_waitcnt vmcnt(0)
	v_add_f64 v[60:61], v[80:81], v[60:61]
	s_clause 0x5
	buffer_load_dword v80, off, s[48:51], 0 offset:460
	buffer_load_dword v81, off, s[48:51], 0 offset:464
	buffer_load_dword v82, off, s[48:51], 0 offset:412
	buffer_load_dword v83, off, s[48:51], 0 offset:416
	buffer_load_dword v28, off, s[48:51], 0 offset:396
	buffer_load_dword v29, off, s[48:51], 0 offset:400
	v_mul_f64 v[56:57], v[152:153], s[22:23]
	v_mul_f64 v[40:41], v[154:155], s[20:21]
	v_add_f64 v[42:43], v[42:43], v[22:23]
	v_add_f64 v[34:35], v[34:35], v[38:39]
	;; [unrolled: 1-line block ×8, first 2 shown]
	v_mul_f64 v[56:57], v[142:143], s[18:19]
	v_fma_f64 v[50:51], v[148:149], s[22:23], v[40:41]
	v_fma_f64 v[40:41], v[148:149], s[22:23], -v[40:41]
	v_add_f64 v[10:11], v[52:53], v[8:9]
	v_add_f64 v[56:57], v[56:57], -v[202:203]
	v_add_f64 v[8:9], v[58:59], v[44:45]
	v_add_f64 v[36:37], v[40:41], v[36:37]
	;; [unrolled: 1-line block ×4, first 2 shown]
	s_waitcnt vmcnt(4)
	v_add_f64 v[46:47], v[46:47], -v[80:81]
	s_waitcnt vmcnt(2)
	v_add_f64 v[64:65], v[82:83], v[64:65]
	s_waitcnt vmcnt(0)
	v_add_f64 v[66:67], v[66:67], -v[28:29]
	s_clause 0x4
	buffer_load_dword v28, off, s[48:51], 0 offset:348
	buffer_load_dword v29, off, s[48:51], 0 offset:352
	;; [unrolled: 1-line block ×5, first 2 shown]
	v_fma_f64 v[80:81], v[142:143], s[2:3], v[62:63]
	v_fma_f64 v[62:63], v[142:143], s[2:3], -v[62:63]
	v_add_f64 v[16:17], v[46:47], v[54:55]
	v_add_f64 v[22:23], v[64:65], v[20:21]
	;; [unrolled: 1-line block ×3, first 2 shown]
	s_waitcnt vmcnt(3)
	v_add_f64 v[28:29], v[28:29], v[70:71]
	v_add_f64 v[70:71], v[2:3], v[76:77]
	s_waitcnt vmcnt(1)
	v_add_f64 v[38:39], v[30:31], -v[38:39]
	v_add_f64 v[30:31], v[0:1], v[74:75]
	v_add_f64 v[2:3], v[94:95], v[6:7]
	v_add_f64 v[6:7], v[92:93], v[4:5]
	v_add_f64 v[4:5], v[62:63], v[36:37]
	v_add_f64 v[0:1], v[80:81], v[40:41]
	s_waitcnt vmcnt(0)
	v_lshl_add_u32 v32, v32, 4, v162
	v_add_f64 v[26:27], v[28:29], v[34:35]
	v_add_f64 v[28:29], v[70:71], v[72:73]
	;; [unrolled: 1-line block ×3, first 2 shown]
	ds_write_b128 v32, v[28:31]
	ds_write_b128 v32, v[24:27] offset:16
	ds_write_b128 v32, v[20:23] offset:32
	;; [unrolled: 1-line block ×7, first 2 shown]
	s_clause 0x3
	buffer_load_dword v0, off, s[48:51], 0 offset:72
	buffer_load_dword v1, off, s[48:51], 0 offset:76
	buffer_load_dword v2, off, s[48:51], 0 offset:80
	buffer_load_dword v3, off, s[48:51], 0 offset:84
	s_waitcnt vmcnt(0)
	ds_write_b128 v32, v[0:3] offset:128
	s_clause 0x3
	buffer_load_dword v0, off, s[48:51], 0 offset:56
	buffer_load_dword v1, off, s[48:51], 0 offset:60
	buffer_load_dword v2, off, s[48:51], 0 offset:64
	buffer_load_dword v3, off, s[48:51], 0 offset:68
	s_waitcnt vmcnt(0)
	ds_write_b128 v32, v[0:3] offset:144
	s_clause 0x3
	buffer_load_dword v0, off, s[48:51], 0 offset:40
	buffer_load_dword v1, off, s[48:51], 0 offset:44
	buffer_load_dword v2, off, s[48:51], 0 offset:48
	buffer_load_dword v3, off, s[48:51], 0 offset:52
	s_waitcnt vmcnt(0)
	ds_write_b128 v32, v[0:3] offset:160
	s_clause 0x3
	buffer_load_dword v0, off, s[48:51], 0 offset:24
	buffer_load_dword v1, off, s[48:51], 0 offset:28
	buffer_load_dword v2, off, s[48:51], 0 offset:32
	buffer_load_dword v3, off, s[48:51], 0 offset:36
	s_waitcnt vmcnt(0)
	ds_write_b128 v32, v[0:3] offset:176
	s_clause 0x3
	buffer_load_dword v0, off, s[48:51], 0 offset:8
	buffer_load_dword v1, off, s[48:51], 0 offset:12
	buffer_load_dword v2, off, s[48:51], 0 offset:16
	buffer_load_dword v3, off, s[48:51], 0 offset:20
	s_waitcnt vmcnt(0)
	ds_write_b128 v32, v[0:3] offset:192
.LBB0_7:
	s_or_b32 exec_lo, exec_lo, s33
	buffer_load_dword v79, off, s[48:51], 0 ; 4-byte Folded Reload
	s_waitcnt vmcnt(0) lgkmcnt(0)
	s_waitcnt_vscnt null, 0x0
	s_barrier
	buffer_gl0_inv
	s_mov_b32 s2, 0xe8584caa
	s_mov_b32 s3, 0x3febb67a
	;; [unrolled: 1-line block ×18, first 2 shown]
	v_add_nc_u16 v0, v79, 26
	v_add_nc_u16 v1, v79, 39
	;; [unrolled: 1-line block ×3, first 2 shown]
	v_lshlrev_b32_e32 v5, 5, v79
	v_and_b32_e32 v2, 0xff, v0
	v_and_b32_e32 v3, 0xff, v1
	v_and_b32_e32 v6, 0xff, v4
	s_clause 0x1
	global_load_dwordx4 v[88:91], v5, s[0:1]
	global_load_dwordx4 v[80:83], v5, s[0:1] offset:16
	v_mul_lo_u16 v2, 0x4f, v2
	v_mul_lo_u16 v3, 0x4f, v3
	;; [unrolled: 1-line block ×3, first 2 shown]
	v_lshrrev_b16 v2, 10, v2
	v_lshrrev_b16 v3, 10, v3
	v_mul_lo_u16 v2, v2, 13
	v_sub_nc_u16 v2, v0, v2
	v_mul_lo_u16 v0, v3, 13
	v_lshlrev_b16 v6, 1, v2
	v_sub_nc_u16 v3, v1, v0
	v_lshrrev_b16 v0, 10, v5
	v_and_b32_e32 v2, 0xff, v2
	v_and_b32_e32 v1, 0xfe, v6
	v_lshlrev_b16 v5, 1, v3
	v_mul_lo_u16 v0, v0, 13
	v_and_b32_e32 v3, 0xff, v3
	v_lshlrev_b32_e32 v1, 4, v1
	v_and_b32_e32 v5, 0xfe, v5
	v_sub_nc_u16 v4, v4, v0
	s_clause 0x1
	global_load_dwordx4 v[108:111], v1, s[0:1]
	global_load_dwordx4 v[75:78], v1, s[0:1] offset:16
	v_lshlrev_b32_e32 v0, 4, v5
	v_add_nc_u16 v5, v79, 0x41
	global_load_dwordx4 v[116:119], v0, s[0:1]
	v_and_b32_e32 v6, 0xff, v5
	v_lshlrev_b16 v1, 1, v4
	v_and_b32_e32 v4, 0xff, v4
	v_mul_lo_u16 v6, 0x4f, v6
	v_and_b32_e32 v1, 0xfe, v1
	v_lshrrev_b16 v6, 10, v6
	v_lshlrev_b32_e32 v1, 4, v1
	s_clause 0x1
	global_load_dwordx4 v[112:115], v0, s[0:1] offset:16
	global_load_dwordx4 v[84:87], v1, s[0:1]
	v_mul_lo_u16 v0, v6, 13
	global_load_dwordx4 v[104:107], v1, s[0:1] offset:16
	v_sub_nc_u16 v5, v5, v0
	v_add_nc_u16 v0, v79, 0x4e
	v_lshlrev_b16 v1, 1, v5
	v_and_b32_e32 v6, 0xff, v0
	v_and_b32_e32 v5, 0xff, v5
	;; [unrolled: 1-line block ×3, first 2 shown]
	v_mul_lo_u16 v6, 0x4f, v6
	v_lshlrev_b32_e32 v1, 4, v1
	v_lshrrev_b16 v6, 10, v6
	s_clause 0x1
	global_load_dwordx4 v[100:103], v1, s[0:1]
	global_load_dwordx4 v[96:99], v1, s[0:1] offset:16
	v_mul_lo_u16 v6, v6, 13
	v_sub_nc_u16 v6, v0, v6
	v_lshlrev_b16 v0, 1, v6
	v_and_b32_e32 v6, 0xff, v6
	v_and_b32_e32 v0, 0xfe, v0
	v_lshlrev_b32_e32 v0, 4, v0
	s_clause 0x1
	global_load_dwordx4 v[92:95], v0, s[0:1]
	global_load_dwordx4 v[140:143], v0, s[0:1] offset:16
	ds_read_b128 v[7:10], v166 offset:1456
	ds_read_b128 v[11:14], v166 offset:2912
	;; [unrolled: 1-line block ×10, first 2 shown]
	s_waitcnt vmcnt(11) lgkmcnt(9)
	v_mul_f64 v[0:1], v[9:10], v[90:91]
	v_mul_f64 v[47:48], v[7:8], v[90:91]
	s_waitcnt vmcnt(10) lgkmcnt(8)
	v_mul_f64 v[49:50], v[13:14], v[82:83]
	v_mul_f64 v[51:52], v[11:12], v[82:83]
	s_waitcnt lgkmcnt(6)
	v_mul_f64 v[57:58], v[21:22], v[82:83]
	v_mul_f64 v[53:54], v[17:18], v[90:91]
	;; [unrolled: 1-line block ×4, first 2 shown]
	v_fma_f64 v[0:1], v[7:8], v[88:89], -v[0:1]
	v_fma_f64 v[47:48], v[9:10], v[88:89], v[47:48]
	v_fma_f64 v[49:50], v[11:12], v[80:81], -v[49:50]
	v_fma_f64 v[51:52], v[13:14], v[80:81], v[51:52]
	ds_read_b128 v[7:10], v166 offset:3744
	ds_read_b128 v[11:14], v166 offset:3952
	v_fma_f64 v[57:58], v[19:20], v[80:81], -v[57:58]
	v_fma_f64 v[53:54], v[15:16], v[88:89], -v[53:54]
	v_fma_f64 v[55:56], v[17:18], v[88:89], v[55:56]
	v_fma_f64 v[59:60], v[21:22], v[80:81], v[59:60]
	s_waitcnt vmcnt(9) lgkmcnt(6)
	v_mul_f64 v[61:62], v[29:30], v[110:111]
	s_waitcnt vmcnt(8) lgkmcnt(5)
	v_mul_f64 v[65:66], v[33:34], v[77:78]
	v_mul_f64 v[63:64], v[27:28], v[110:111]
	v_mul_f64 v[67:68], v[31:32], v[77:78]
	s_waitcnt vmcnt(7) lgkmcnt(4)
	v_mul_f64 v[69:70], v[37:38], v[118:119]
	v_mul_f64 v[71:72], v[35:36], v[118:119]
	s_waitcnt vmcnt(6) lgkmcnt(3)
	v_mul_f64 v[19:20], v[41:42], v[114:115]
	v_fma_f64 v[61:62], v[27:28], v[108:109], -v[61:62]
	buffer_store_dword v108, off, s[48:51], 0 offset:428 ; 4-byte Folded Spill
	buffer_store_dword v109, off, s[48:51], 0 offset:432 ; 4-byte Folded Spill
	;; [unrolled: 1-line block ×4, first 2 shown]
	v_fma_f64 v[65:66], v[31:32], v[75:76], -v[65:66]
	buffer_store_dword v75, off, s[48:51], 0 offset:396 ; 4-byte Folded Spill
	buffer_store_dword v76, off, s[48:51], 0 offset:400 ; 4-byte Folded Spill
	;; [unrolled: 1-line block ×4, first 2 shown]
	v_mul_f64 v[21:22], v[39:40], v[114:115]
	ds_read_b128 v[15:18], v166 offset:2496
	v_fma_f64 v[69:70], v[35:36], v[116:117], -v[69:70]
	buffer_store_dword v116, off, s[48:51], 0 offset:460 ; 4-byte Folded Spill
	buffer_store_dword v117, off, s[48:51], 0 offset:464 ; 4-byte Folded Spill
	;; [unrolled: 1-line block ×4, first 2 shown]
	s_waitcnt vmcnt(5) lgkmcnt(3)
	v_mul_f64 v[73:74], v[45:46], v[86:87]
	v_mul_f64 v[27:28], v[43:44], v[86:87]
	s_waitcnt vmcnt(4) lgkmcnt(2)
	v_mul_f64 v[31:32], v[7:8], v[106:107]
	s_waitcnt vmcnt(2) lgkmcnt(1)
	v_mul_f64 v[35:36], v[13:14], v[98:99]
	v_fma_f64 v[73:74], v[43:44], v[84:85], -v[73:74]
	v_fma_f64 v[122:123], v[11:12], v[96:97], -v[35:36]
	v_add_f64 v[35:36], v[53:54], -v[57:58]
	v_fma_f64 v[63:64], v[29:30], v[108:109], v[63:64]
	v_mul_f64 v[29:30], v[9:10], v[106:107]
	v_fma_f64 v[67:68], v[33:34], v[75:76], v[67:68]
	v_fma_f64 v[75:76], v[39:40], v[112:113], -v[19:20]
	buffer_store_dword v112, off, s[48:51], 0 offset:444 ; 4-byte Folded Spill
	buffer_store_dword v113, off, s[48:51], 0 offset:448 ; 4-byte Folded Spill
	;; [unrolled: 1-line block ×4, first 2 shown]
	s_waitcnt lgkmcnt(0)
	v_mul_f64 v[33:34], v[17:18], v[102:103]
	v_fma_f64 v[71:72], v[37:38], v[116:117], v[71:72]
	v_fma_f64 v[118:119], v[15:16], v[100:101], -v[33:34]
	v_fma_f64 v[77:78], v[41:42], v[112:113], v[21:22]
	ds_read_b128 v[19:22], v166 offset:2704
	buffer_store_dword v84, off, s[48:51], 0 offset:412 ; 4-byte Folded Spill
	buffer_store_dword v85, off, s[48:51], 0 offset:416 ; 4-byte Folded Spill
	;; [unrolled: 1-line block ×4, first 2 shown]
	v_fma_f64 v[86:87], v[7:8], v[104:105], -v[29:30]
	buffer_store_dword v104, off, s[48:51], 0 offset:380 ; 4-byte Folded Spill
	buffer_store_dword v105, off, s[48:51], 0 offset:384 ; 4-byte Folded Spill
	;; [unrolled: 1-line block ×4, first 2 shown]
	v_mul_f64 v[29:30], v[11:12], v[98:99]
	s_waitcnt vmcnt(1) lgkmcnt(0)
	v_mul_f64 v[11:12], v[19:20], v[94:95]
	v_fma_f64 v[84:85], v[45:46], v[84:85], v[27:28]
	v_mul_f64 v[27:28], v[15:16], v[102:103]
	v_mul_f64 v[15:16], v[21:22], v[94:95]
	buffer_store_dword v100, off, s[48:51], 0 offset:364 ; 4-byte Folded Spill
	buffer_store_dword v101, off, s[48:51], 0 offset:368 ; 4-byte Folded Spill
	;; [unrolled: 1-line block ×4, first 2 shown]
	v_fma_f64 v[116:117], v[9:10], v[104:105], v[31:32]
	ds_read_b128 v[7:10], v166 offset:4160
	buffer_store_dword v96, off, s[48:51], 0 offset:348 ; 4-byte Folded Spill
	buffer_store_dword v97, off, s[48:51], 0 offset:352 ; 4-byte Folded Spill
	;; [unrolled: 1-line block ×4, first 2 shown]
	v_add_f64 v[31:32], v[55:56], -v[59:60]
	v_fma_f64 v[126:127], v[19:20], v[92:93], -v[15:16]
	buffer_store_dword v92, off, s[48:51], 0 offset:332 ; 4-byte Folded Spill
	buffer_store_dword v93, off, s[48:51], 0 offset:336 ; 4-byte Folded Spill
	;; [unrolled: 1-line block ×4, first 2 shown]
	v_add_f64 v[15:16], v[0:1], v[49:50]
	v_add_f64 v[19:20], v[47:48], -v[51:52]
	v_fma_f64 v[120:121], v[17:18], v[100:101], v[27:28]
	v_add_f64 v[27:28], v[55:56], v[59:60]
	v_fma_f64 v[124:125], v[13:14], v[96:97], v[29:30]
	s_waitcnt vmcnt(0) lgkmcnt(0)
	v_mul_f64 v[13:14], v[9:10], v[142:143]
	v_fma_f64 v[128:129], v[21:22], v[92:93], v[11:12]
	v_mul_f64 v[11:12], v[7:8], v[142:143]
	v_fma_f64 v[130:131], v[7:8], v[140:141], -v[13:14]
	v_fma_f64 v[132:133], v[9:10], v[140:141], v[11:12]
	ds_read_b128 v[7:10], v166
	ds_read_b128 v[11:14], v166 offset:208
	s_waitcnt lgkmcnt(1)
	v_fma_f64 v[17:18], v[15:16], -0.5, v[7:8]
	v_add_f64 v[15:16], v[47:48], v[51:52]
	v_add_f64 v[7:8], v[7:8], v[0:1]
	v_add_f64 v[0:1], v[0:1], -v[49:50]
	s_waitcnt lgkmcnt(0)
	v_fma_f64 v[33:34], v[27:28], -0.5, v[13:14]
	v_add_f64 v[13:14], v[13:14], v[55:56]
	v_add_f64 v[55:56], v[118:119], -v[122:123]
	v_fma_f64 v[21:22], v[15:16], -0.5, v[9:10]
	v_fma_f64 v[15:16], v[19:20], s[2:3], v[17:18]
	v_fma_f64 v[19:20], v[19:20], s[4:5], v[17:18]
	v_add_f64 v[9:10], v[9:10], v[47:48]
	v_add_f64 v[7:8], v[7:8], v[49:50]
	;; [unrolled: 1-line block ×3, first 2 shown]
	v_fma_f64 v[29:30], v[35:36], s[4:5], v[33:34]
	v_fma_f64 v[33:34], v[35:36], s[2:3], v[33:34]
	ds_read_b128 v[35:38], v166 offset:416
	ds_read_b128 v[39:42], v166 offset:624
	ds_read_b128 v[43:46], v166 offset:832
	ds_read_b128 v[47:50], v166 offset:1040
	s_waitcnt lgkmcnt(0)
	s_waitcnt_vscnt null, 0x0
	s_barrier
	buffer_gl0_inv
	v_fma_f64 v[17:18], v[0:1], s[4:5], v[21:22]
	v_fma_f64 v[21:22], v[0:1], s[2:3], v[21:22]
	v_add_f64 v[0:1], v[53:54], v[57:58]
	v_add_f64 v[9:10], v[9:10], v[51:52]
	v_fma_f64 v[0:1], v[0:1], -0.5, v[11:12]
	v_add_f64 v[11:12], v[11:12], v[53:54]
	v_add_f64 v[53:54], v[73:74], -v[86:87]
	v_fma_f64 v[27:28], v[31:32], s[2:3], v[0:1]
	v_add_f64 v[11:12], v[11:12], v[57:58]
	v_fma_f64 v[31:32], v[31:32], s[4:5], v[0:1]
	v_add_f64 v[0:1], v[61:62], v[65:66]
	ds_write_b128 v166, v[7:10]
	ds_write_b128 v166, v[11:14] offset:624
	ds_write_b128 v166, v[15:18] offset:208
	;; [unrolled: 1-line block ×4, first 2 shown]
	v_add_f64 v[7:8], v[63:64], v[67:68]
	v_add_f64 v[11:12], v[35:36], v[61:62]
	v_fma_f64 v[0:1], v[0:1], -0.5, v[35:36]
	v_add_f64 v[13:14], v[63:64], -v[67:68]
	v_add_f64 v[19:20], v[61:62], -v[65:66]
	v_add_f64 v[27:28], v[39:40], v[69:70]
	v_add_f64 v[29:30], v[71:72], -v[77:78]
	v_fma_f64 v[17:18], v[7:8], -0.5, v[37:38]
	v_add_f64 v[7:8], v[37:38], v[63:64]
	v_fma_f64 v[15:16], v[13:14], s[4:5], v[0:1]
	v_add_f64 v[9:10], v[7:8], v[67:68]
	v_add_f64 v[7:8], v[11:12], v[65:66]
	v_fma_f64 v[11:12], v[13:14], s[2:3], v[0:1]
	v_fma_f64 v[13:14], v[19:20], s[4:5], v[17:18]
	v_fma_f64 v[17:18], v[19:20], s[2:3], v[17:18]
	v_add_f64 v[0:1], v[69:70], v[75:76]
	v_add_f64 v[19:20], v[71:72], v[77:78]
	v_fma_f64 v[0:1], v[0:1], -0.5, v[39:40]
	v_fma_f64 v[37:38], v[19:20], -0.5, v[41:42]
	v_add_f64 v[19:20], v[41:42], v[71:72]
	v_add_f64 v[39:40], v[69:70], -v[75:76]
	v_fma_f64 v[35:36], v[29:30], s[4:5], v[0:1]
	v_add_f64 v[21:22], v[19:20], v[77:78]
	v_add_f64 v[19:20], v[27:28], v[75:76]
	v_fma_f64 v[27:28], v[29:30], s[2:3], v[0:1]
	v_fma_f64 v[29:30], v[39:40], s[4:5], v[37:38]
	;; [unrolled: 1-line block ×3, first 2 shown]
	v_add_f64 v[0:1], v[73:74], v[86:87]
	v_add_f64 v[39:40], v[84:85], v[116:117]
	v_lshl_add_u32 v77, v5, 4, v162
	v_fma_f64 v[0:1], v[0:1], -0.5, v[43:44]
	v_fma_f64 v[51:52], v[39:40], -0.5, v[45:46]
	v_add_f64 v[39:40], v[45:46], v[84:85]
	v_add_f64 v[43:44], v[43:44], v[73:74]
	v_add_f64 v[45:46], v[84:85], -v[116:117]
	v_fma_f64 v[59:60], v[53:54], s[2:3], v[51:52]
	v_add_f64 v[41:42], v[39:40], v[116:117]
	v_add_f64 v[39:40], v[43:44], v[86:87]
	v_fma_f64 v[43:44], v[45:46], s[2:3], v[0:1]
	v_fma_f64 v[57:58], v[45:46], s[4:5], v[0:1]
	;; [unrolled: 1-line block ×3, first 2 shown]
	v_add_f64 v[0:1], v[118:119], v[122:123]
	v_add_f64 v[51:52], v[120:121], v[124:125]
	v_add_f64 v[53:54], v[120:121], -v[124:125]
	v_fma_f64 v[0:1], v[0:1], -0.5, v[47:48]
	v_fma_f64 v[51:52], v[51:52], -0.5, v[49:50]
	v_add_f64 v[47:48], v[47:48], v[118:119]
	v_add_f64 v[49:50], v[49:50], v[120:121]
	v_fma_f64 v[61:62], v[53:54], s[2:3], v[0:1]
	v_fma_f64 v[65:66], v[53:54], s[4:5], v[0:1]
	;; [unrolled: 1-line block ×4, first 2 shown]
	v_add_f64 v[0:1], v[126:127], v[130:131]
	v_add_f64 v[51:52], v[128:129], v[132:133]
	v_add_f64 v[53:54], v[128:129], -v[132:133]
	v_add_f64 v[55:56], v[126:127], -v[130:131]
	v_add_f64 v[47:48], v[47:48], v[122:123]
	v_add_f64 v[49:50], v[49:50], v[124:125]
	v_fma_f64 v[0:1], v[0:1], -0.5, v[23:24]
	v_fma_f64 v[51:52], v[51:52], -0.5, v[25:26]
	v_add_f64 v[25:26], v[25:26], v[128:129]
	v_add_f64 v[23:24], v[23:24], v[126:127]
	v_fma_f64 v[120:121], v[53:54], s[4:5], v[0:1]
	v_fma_f64 v[122:123], v[55:56], s[2:3], v[51:52]
	;; [unrolled: 1-line block ×4, first 2 shown]
	v_add_f64 v[25:26], v[25:26], v[132:133]
	v_add_f64 v[23:24], v[23:24], v[130:131]
	v_mad_u64_u32 v[0:1], null, 0x60, v79, s[0:1]
	v_lshl_add_u32 v56, v2, 4, v162
	v_lshl_add_u32 v51, v3, 4, v162
	;; [unrolled: 1-line block ×4, first 2 shown]
	ds_write_b128 v166, v[31:34] offset:1040
	ds_write_b128 v56, v[7:10] offset:1248
	ds_write_b128 v51, v[19:22] offset:1872
	ds_write_b128 v3, v[39:42] offset:2496
	ds_write_b128 v77, v[47:50] offset:3120
	ds_write_b128 v2, v[23:26] offset:3744
	ds_write_b128 v56, v[11:14] offset:1456
	ds_write_b128 v56, v[15:18] offset:1664
	ds_write_b128 v51, v[27:30] offset:2080
	buffer_store_dword v51, off, s[48:51], 0 offset:508 ; 4-byte Folded Spill
	ds_write_b128 v51, v[35:38] offset:2288
	ds_write_b128 v3, v[43:46] offset:2704
	buffer_store_dword v3, off, s[48:51], 0 offset:500 ; 4-byte Folded Spill
	ds_write_b128 v3, v[57:60] offset:2912
	ds_write_b128 v77, v[61:64] offset:3328
	ds_write_b128 v77, v[65:68] offset:3536
	ds_write_b128 v2, v[116:119] offset:3952
	buffer_store_dword v2, off, s[48:51], 0 offset:492 ; 4-byte Folded Spill
	ds_write_b128 v2, v[120:123] offset:4160
	s_waitcnt lgkmcnt(0)
	s_waitcnt_vscnt null, 0x0
	s_barrier
	buffer_gl0_inv
	s_clause 0x5
	global_load_dwordx4 v[128:131], v[0:1], off offset:416
	global_load_dwordx4 v[124:127], v[0:1], off offset:432
	;; [unrolled: 1-line block ×6, first 2 shown]
	ds_read_b128 v[2:5], v166 offset:624
	ds_read_b128 v[6:9], v166 offset:1248
	;; [unrolled: 1-line block ×7, first 2 shown]
	s_mov_b32 s2, 0x36b3c0b5
	s_mov_b32 s3, 0x3fac98ee
	;; [unrolled: 1-line block ×4, first 2 shown]
	s_waitcnt vmcnt(5) lgkmcnt(6)
	v_mul_f64 v[30:31], v[4:5], v[130:131]
	v_mul_f64 v[32:33], v[2:3], v[130:131]
	s_waitcnt vmcnt(4) lgkmcnt(5)
	v_mul_f64 v[34:35], v[8:9], v[126:127]
	v_mul_f64 v[36:37], v[6:7], v[126:127]
	;; [unrolled: 3-line block ×3, first 2 shown]
	v_fma_f64 v[42:43], v[2:3], v[128:129], -v[30:31]
	s_waitcnt vmcnt(2) lgkmcnt(0)
	v_mul_f64 v[30:31], v[28:29], v[50:51]
	v_fma_f64 v[44:45], v[4:5], v[128:129], v[32:33]
	ds_read_b128 v[2:5], v166 offset:2704
	v_fma_f64 v[34:35], v[6:7], v[124:125], -v[34:35]
	v_fma_f64 v[36:37], v[8:9], v[124:125], v[36:37]
	ds_read_b128 v[6:9], v166 offset:3120
	v_mul_f64 v[32:33], v[26:27], v[50:51]
	v_fma_f64 v[38:39], v[10:11], v[120:121], -v[38:39]
	v_fma_f64 v[40:41], v[12:13], v[120:121], v[40:41]
	v_fma_f64 v[46:47], v[26:27], v[48:49], -v[30:31]
	buffer_store_dword v48, off, s[48:51], 0 offset:476 ; 4-byte Folded Spill
	buffer_store_dword v49, off, s[48:51], 0 offset:480 ; 4-byte Folded Spill
	;; [unrolled: 1-line block ×4, first 2 shown]
	ds_read_b128 v[10:13], v166 offset:2912
	s_waitcnt vmcnt(1) lgkmcnt(1)
	v_mul_f64 v[26:27], v[8:9], v[134:135]
	v_fma_f64 v[54:55], v[6:7], v[132:133], -v[26:27]
	v_mul_f64 v[6:7], v[6:7], v[134:135]
	v_fma_f64 v[57:58], v[8:9], v[132:133], v[6:7]
	v_fma_f64 v[52:53], v[28:29], v[48:49], v[32:33]
	ds_read_b128 v[6:9], v166 offset:3744
	ds_read_b128 v[26:29], v166 offset:3952
	s_clause 0x1
	global_load_dwordx4 v[184:187], v[0:1], off offset:1664
	global_load_dwordx4 v[160:163], v[0:1], off offset:1680
	s_waitcnt vmcnt(2) lgkmcnt(1)
	v_mul_f64 v[30:31], v[8:9], v[138:139]
	v_fma_f64 v[59:60], v[6:7], v[136:137], -v[30:31]
	v_mul_f64 v[6:7], v[6:7], v[138:139]
	v_fma_f64 v[61:62], v[8:9], v[136:137], v[6:7]
	ds_read_b128 v[6:9], v166 offset:832
	ds_read_b128 v[30:33], v166 offset:1040
	s_waitcnt vmcnt(1) lgkmcnt(1)
	v_mul_f64 v[48:49], v[8:9], v[186:187]
	v_fma_f64 v[63:64], v[6:7], v[184:185], -v[48:49]
	s_clause 0x1
	global_load_dwordx4 v[172:175], v[0:1], off offset:1696
	global_load_dwordx4 v[48:51], v[0:1], off offset:1712
	v_mul_f64 v[6:7], v[6:7], v[186:187]
	v_fma_f64 v[65:66], v[8:9], v[184:185], v[6:7]
	s_waitcnt vmcnt(2)
	v_mul_f64 v[6:7], v[20:21], v[162:163]
	v_fma_f64 v[67:68], v[18:19], v[160:161], -v[6:7]
	v_mul_f64 v[6:7], v[18:19], v[162:163]
	v_fma_f64 v[69:70], v[20:21], v[160:161], v[6:7]
	ds_read_b128 v[6:9], v166 offset:2080
	ds_read_b128 v[18:21], v166 offset:2288
	s_clause 0x1
	global_load_dwordx4 v[180:183], v[0:1], off offset:1728
	global_load_dwordx4 v[176:179], v[0:1], off offset:1744
	v_add_co_u32 v0, s0, 0x4e0, v0
	v_add_co_ci_u32_e64 v1, s0, 0, v1, s0
	s_mov_b32 s0, 0xaaaaaaaa
	s_mov_b32 s1, 0xbff2aaaa
	s_waitcnt vmcnt(3) lgkmcnt(1)
	v_mul_f64 v[71:72], v[8:9], v[174:175]
	v_fma_f64 v[71:72], v[6:7], v[172:173], -v[71:72]
	v_mul_f64 v[6:7], v[6:7], v[174:175]
	v_fma_f64 v[73:74], v[8:9], v[172:173], v[6:7]
	s_waitcnt vmcnt(2)
	v_mul_f64 v[6:7], v[4:5], v[50:51]
	v_fma_f64 v[75:76], v[2:3], v[48:49], -v[6:7]
	v_mul_f64 v[2:3], v[2:3], v[50:51]
	v_add_f64 v[194:195], v[71:72], v[75:76]
	v_fma_f64 v[78:79], v[4:5], v[48:49], v[2:3]
	ds_read_b128 v[2:5], v166 offset:3328
	ds_read_b128 v[6:9], v166 offset:3536
	s_clause 0x5
	global_load_dwordx4 v[188:191], v[0:1], off offset:1664
	global_load_dwordx4 v[168:171], v[0:1], off offset:1680
	;; [unrolled: 1-line block ×6, first 2 shown]
	s_waitcnt vmcnt(7) lgkmcnt(1)
	v_mul_f64 v[84:85], v[4:5], v[182:183]
	v_add_f64 v[230:231], v[73:74], v[78:79]
	v_fma_f64 v[84:85], v[2:3], v[180:181], -v[84:85]
	v_mul_f64 v[2:3], v[2:3], v[182:183]
	v_fma_f64 v[86:87], v[4:5], v[180:181], v[2:3]
	s_waitcnt vmcnt(6)
	v_mul_f64 v[2:3], v[28:29], v[178:179]
	v_add_f64 v[228:229], v[69:70], v[86:87]
	v_fma_f64 v[192:193], v[26:27], v[176:177], -v[2:3]
	v_mul_f64 v[2:3], v[26:27], v[178:179]
	v_fma_f64 v[26:27], v[28:29], v[176:177], v[2:3]
	v_add_f64 v[226:227], v[65:66], v[26:27]
	s_waitcnt vmcnt(5)
	v_mul_f64 v[2:3], v[32:33], v[190:191]
	s_waitcnt vmcnt(1) lgkmcnt(0)
	v_mul_f64 v[0:1], v[8:9], v[158:159]
	v_fma_f64 v[196:197], v[30:31], v[188:189], -v[2:3]
	v_mul_f64 v[2:3], v[30:31], v[190:191]
	v_fma_f64 v[216:217], v[6:7], v[156:157], -v[0:1]
	v_mul_f64 v[0:1], v[6:7], v[158:159]
	v_add_f64 v[30:31], v[67:68], v[84:85]
	v_fma_f64 v[198:199], v[32:33], v[188:189], v[2:3]
	v_mul_f64 v[2:3], v[24:25], v[170:171]
	v_fma_f64 v[218:219], v[8:9], v[156:157], v[0:1]
	v_add_f64 v[32:33], v[63:64], v[192:193]
	v_add_f64 v[8:9], v[42:43], v[59:60]
	v_fma_f64 v[200:201], v[22:23], v[168:169], -v[2:3]
	v_mul_f64 v[2:3], v[22:23], v[170:171]
	v_add_f64 v[208:209], v[30:31], v[32:33]
	v_add_f64 v[22:23], v[36:37], v[57:58]
	;; [unrolled: 1-line block ×3, first 2 shown]
	v_fma_f64 v[202:203], v[24:25], v[168:169], v[2:3]
	v_mul_f64 v[2:3], v[20:21], v[150:151]
	v_add_f64 v[224:225], v[194:195], v[208:209]
	v_add_f64 v[208:209], v[228:229], v[226:227]
	;; [unrolled: 1-line block ×4, first 2 shown]
	v_fma_f64 v[204:205], v[18:19], v[148:149], -v[2:3]
	v_mul_f64 v[2:3], v[18:19], v[150:151]
	v_add_f64 v[232:233], v[230:231], v[208:209]
	v_fma_f64 v[206:207], v[20:21], v[148:149], v[2:3]
	v_mul_f64 v[2:3], v[12:13], v[146:147]
	v_add_f64 v[20:21], v[44:45], v[61:62]
	v_fma_f64 v[212:213], v[10:11], v[144:145], -v[2:3]
	v_mul_f64 v[2:3], v[10:11], v[146:147]
	v_add_f64 v[10:11], v[34:35], v[54:55]
	v_add_f64 v[238:239], v[204:205], v[212:213]
	v_fma_f64 v[214:215], v[12:13], v[144:145], v[2:3]
	ds_read_b128 v[0:3], v166 offset:4160
	v_add_f64 v[12:13], v[38:39], v[46:47]
	s_waitcnt vmcnt(0) lgkmcnt(0)
	v_mul_f64 v[4:5], v[2:3], v[154:155]
	v_add_f64 v[246:247], v[206:207], v[214:215]
	v_fma_f64 v[220:221], v[0:1], v[152:153], -v[4:5]
	v_mul_f64 v[0:1], v[0:1], v[154:155]
	v_add_f64 v[234:235], v[196:197], v[220:221]
	v_fma_f64 v[222:223], v[2:3], v[152:153], v[0:1]
	v_add_f64 v[0:1], v[10:11], v[8:9]
	v_add_f64 v[208:209], v[236:237], v[234:235]
	;; [unrolled: 1-line block ×8, first 2 shown]
	ds_read_b128 v[0:3], v166
	ds_read_b128 v[4:7], v166 offset:208
	s_waitcnt lgkmcnt(1)
	v_add_f64 v[0:1], v[0:1], v[18:19]
	v_add_f64 v[248:249], v[246:247], v[208:209]
	;; [unrolled: 1-line block ×3, first 2 shown]
	s_waitcnt lgkmcnt(0)
	v_add_f64 v[4:5], v[4:5], v[224:225]
	v_add_f64 v[6:7], v[6:7], v[232:233]
	;; [unrolled: 1-line block ×3, first 2 shown]
	v_add_f64 v[14:15], v[46:47], -v[38:39]
	v_add_f64 v[38:39], v[10:11], -v[8:9]
	;; [unrolled: 1-line block ×3, first 2 shown]
	v_add_f64 v[210:211], v[16:17], v[248:249]
	v_fma_f64 v[16:17], v[18:19], s[0:1], v[0:1]
	v_fma_f64 v[18:19], v[28:29], s[0:1], v[2:3]
	ds_write_b128 v166, v[0:3]
	v_add_f64 v[0:1], v[34:35], -v[54:55]
	v_add_f64 v[28:29], v[42:43], -v[59:60]
	;; [unrolled: 1-line block ×5, first 2 shown]
	v_fma_f64 v[224:225], v[224:225], s[0:1], v[4:5]
	v_fma_f64 v[232:233], v[232:233], s[0:1], v[6:7]
	ds_write_b128 v166, v[4:7] offset:208
	v_add_f64 v[40:41], v[12:13], -v[10:11]
	v_add_f64 v[10:11], v[22:23], -v[20:21]
	v_add_f64 v[22:23], v[24:25], -v[22:23]
	v_add_f64 v[12:13], v[20:21], -v[24:25]
	v_add_f64 v[4:5], v[14:15], v[0:1]
	v_add_f64 v[6:7], v[14:15], -v[0:1]
	v_add_f64 v[42:43], v[0:1], -v[28:29]
	v_add_f64 v[0:1], v[34:35], v[2:3]
	v_add_f64 v[46:47], v[2:3], -v[36:37]
	v_add_f64 v[44:45], v[34:35], -v[2:3]
	v_add_f64 v[20:21], v[28:29], -v[14:15]
	v_add_f64 v[24:25], v[36:37], -v[34:35]
	v_mul_f64 v[34:35], v[8:9], s[22:23]
	v_mul_f64 v[2:3], v[22:23], s[2:3]
	v_add_f64 v[52:53], v[4:5], v[28:29]
	v_mul_f64 v[57:58], v[6:7], s[18:19]
	v_mul_f64 v[14:15], v[42:43], s[12:13]
	v_add_f64 v[54:55], v[0:1], v[36:37]
	v_mul_f64 v[28:29], v[46:47], s[12:13]
	v_mul_f64 v[36:37], v[12:13], s[22:23]
	;; [unrolled: 1-line block ×4, first 2 shown]
	v_fma_f64 v[2:3], v[10:11], s[16:17], -v[2:3]
	v_fma_f64 v[4:5], v[42:43], s[12:13], -v[57:58]
	v_fma_f64 v[8:9], v[20:21], s[26:27], -v[14:15]
	v_fma_f64 v[14:15], v[38:39], s[24:25], -v[34:35]
	v_fma_f64 v[12:13], v[24:25], s[26:27], -v[28:29]
	v_fma_f64 v[10:11], v[10:11], s[24:25], -v[36:37]
	v_fma_f64 v[0:1], v[38:39], s[16:17], -v[0:1]
	v_fma_f64 v[20:21], v[20:21], s[20:21], v[57:58]
	v_fma_f64 v[24:25], v[24:25], s[20:21], v[44:45]
	;; [unrolled: 1-line block ×3, first 2 shown]
	v_add_f64 v[61:62], v[2:3], v[18:19]
	v_add_f64 v[36:37], v[63:64], -v[192:193]
	v_add_f64 v[42:43], v[30:31], -v[32:33]
	;; [unrolled: 1-line block ×3, first 2 shown]
	v_fma_f64 v[6:7], v[52:53], s[4:5], v[4:5]
	v_fma_f64 v[28:29], v[52:53], s[4:5], v[8:9]
	v_add_f64 v[14:15], v[14:15], v[16:17]
	v_fma_f64 v[12:13], v[54:55], s[4:5], v[12:13]
	v_add_f64 v[38:39], v[10:11], v[18:19]
	v_add_f64 v[59:60], v[0:1], v[16:17]
	v_fma_f64 v[4:5], v[46:47], s[12:13], -v[44:45]
	v_add_f64 v[44:45], v[194:195], -v[30:31]
	v_add_f64 v[22:23], v[22:23], v[18:19]
	v_add_f64 v[46:47], v[228:229], -v[226:227]
	v_add_f64 v[2:3], v[6:7], v[61:62]
	;; [unrolled: 2-line block ×3, first 2 shown]
	v_add_f64 v[10:11], v[38:39], -v[28:29]
	v_add_f64 v[12:13], v[14:15], -v[12:13]
	v_add_f64 v[14:15], v[28:29], v[38:39]
	v_fma_f64 v[28:29], v[40:41], s[2:3], v[34:35]
	v_fma_f64 v[34:35], v[52:53], s[4:5], v[20:21]
	v_fma_f64 v[20:21], v[54:55], s[4:5], v[24:25]
	v_add_f64 v[38:39], v[78:79], -v[73:74]
	v_fma_f64 v[4:5], v[54:55], s[4:5], v[4:5]
	v_add_f64 v[40:41], v[65:66], -v[26:27]
	v_add_f64 v[52:53], v[230:231], -v[228:229]
	v_add_f64 v[24:25], v[28:29], v[16:17]
	v_add_f64 v[18:19], v[22:23], -v[34:35]
	v_add_f64 v[22:23], v[34:35], v[22:23]
	v_add_f64 v[34:35], v[75:76], -v[71:72]
	v_add_f64 v[28:29], v[69:70], -v[86:87]
	;; [unrolled: 1-line block ×3, first 2 shown]
	v_add_f64 v[4:5], v[4:5], v[59:60]
	v_fma_f64 v[86:87], v[240:241], s[0:1], v[208:209]
	v_add_f64 v[16:17], v[20:21], v[24:25]
	v_add_f64 v[20:21], v[24:25], -v[20:21]
	v_add_f64 v[24:25], v[67:68], -v[84:85]
	;; [unrolled: 1-line block ×5, first 2 shown]
	v_add_f64 v[26:27], v[34:35], v[24:25]
	v_add_f64 v[54:55], v[24:25], -v[36:37]
	v_add_f64 v[24:25], v[38:39], v[28:29]
	v_mul_f64 v[57:58], v[57:58], s[18:19]
	v_mul_f64 v[65:66], v[30:31], s[18:19]
	v_add_f64 v[61:62], v[26:27], v[36:37]
	v_mul_f64 v[26:27], v[52:53], s[2:3]
	v_add_f64 v[63:64], v[24:25], v[40:41]
	v_mul_f64 v[24:25], v[44:45], s[2:3]
	v_add_f64 v[40:41], v[40:41], -v[38:39]
	v_fma_f64 v[28:29], v[54:55], s[12:13], -v[65:66]
	v_fma_f64 v[26:27], v[46:47], s[16:17], -v[26:27]
	;; [unrolled: 1-line block ×3, first 2 shown]
	v_fma_f64 v[30:31], v[61:62], s[4:5], v[28:29]
	v_fma_f64 v[28:29], v[59:60], s[12:13], -v[57:58]
	v_add_f64 v[69:70], v[26:27], v[232:233]
	v_add_f64 v[67:68], v[24:25], v[224:225]
	v_fma_f64 v[28:29], v[63:64], s[4:5], v[28:29]
	v_add_f64 v[26:27], v[30:31], v[69:70]
	v_add_f64 v[30:31], v[69:70], -v[30:31]
	v_add_f64 v[69:70], v[36:37], -v[34:35]
	v_mul_f64 v[34:35], v[54:55], s[12:13]
	v_mul_f64 v[36:37], v[59:60], s[12:13]
	;; [unrolled: 1-line block ×3, first 2 shown]
	v_add_f64 v[24:25], v[67:68], -v[28:29]
	v_add_f64 v[28:29], v[28:29], v[67:68]
	v_add_f64 v[67:68], v[226:227], -v[230:231]
	v_fma_f64 v[32:33], v[69:70], s[26:27], -v[34:35]
	v_fma_f64 v[34:35], v[40:41], s[26:27], -v[36:37]
	;; [unrolled: 1-line block ×3, first 2 shown]
	v_fma_f64 v[40:41], v[40:41], s[20:21], v[57:58]
	v_fma_f64 v[44:45], v[44:45], s[2:3], v[54:55]
	v_add_f64 v[57:58], v[214:215], -v[206:207]
	v_mul_f64 v[59:60], v[67:68], s[22:23]
	v_add_f64 v[67:68], v[246:247], -v[244:245]
	v_fma_f64 v[42:43], v[61:62], s[4:5], v[32:33]
	v_add_f64 v[36:37], v[36:37], v[224:225]
	v_fma_f64 v[54:55], v[63:64], s[4:5], v[40:41]
	v_add_f64 v[44:45], v[44:45], v[224:225]
	v_fma_f64 v[38:39], v[46:47], s[24:25], -v[59:60]
	v_fma_f64 v[46:47], v[63:64], s[4:5], v[34:35]
	v_add_f64 v[63:64], v[238:239], -v[236:237]
	v_mul_f64 v[84:85], v[67:68], s[2:3]
	v_add_f64 v[40:41], v[54:55], v[44:45]
	v_add_f64 v[192:193], v[44:45], -v[54:55]
	v_add_f64 v[44:45], v[200:201], -v[216:217]
	;; [unrolled: 1-line block ×3, first 2 shown]
	v_fma_f64 v[200:201], v[248:249], s[0:1], v[210:211]
	v_add_f64 v[38:39], v[38:39], v[232:233]
	v_add_f64 v[32:33], v[46:47], v[36:37]
	v_add_f64 v[36:37], v[36:37], -v[46:47]
	v_fma_f64 v[46:47], v[52:53], s[2:3], v[59:60]
	v_add_f64 v[59:60], v[198:199], -v[222:223]
	v_mul_f64 v[78:79], v[63:64], s[2:3]
	v_add_f64 v[75:76], v[57:58], -v[54:55]
	v_add_f64 v[73:74], v[57:58], v[54:55]
	v_add_f64 v[34:35], v[38:39], -v[42:43]
	v_add_f64 v[38:39], v[42:43], v[38:39]
	v_fma_f64 v[42:43], v[69:70], s[20:21], v[65:66]
	v_add_f64 v[46:47], v[46:47], v[232:233]
	v_add_f64 v[65:66], v[244:245], -v[242:243]
	v_add_f64 v[54:55], v[54:55], -v[59:60]
	v_mul_f64 v[75:76], v[75:76], s[18:19]
	v_add_f64 v[73:74], v[73:74], v[59:60]
	v_fma_f64 v[52:53], v[61:62], s[4:5], v[42:43]
	v_add_f64 v[61:62], v[236:237], -v[234:235]
	v_fma_f64 v[84:85], v[65:66], s[16:17], -v[84:85]
	v_fma_f64 v[198:199], v[54:55], s[12:13], -v[75:76]
	v_mul_f64 v[54:55], v[54:55], s[12:13]
	v_add_f64 v[42:43], v[46:47], -v[52:53]
	ds_write_b128 v166, v[16:19] offset:624
	ds_write_b128 v166, v[8:11] offset:1248
	;; [unrolled: 1-line block ×11, first 2 shown]
	s_clause 0x1
	buffer_load_dword v39, off, s[48:51], 0 offset:328
	buffer_load_dword v0, off, s[48:51], 0 offset:4
	v_add_f64 v[194:195], v[52:53], v[46:47]
	v_add_f64 v[46:47], v[212:213], -v[204:205]
	v_add_f64 v[52:53], v[196:197], -v[220:221]
	v_fma_f64 v[78:79], v[61:62], s[16:17], -v[78:79]
	v_fma_f64 v[198:199], v[73:74], s[4:5], v[198:199]
	v_add_f64 v[84:85], v[84:85], v[200:201]
	v_add_f64 v[71:72], v[46:47], -v[44:45]
	v_add_f64 v[69:70], v[46:47], v[44:45]
	v_add_f64 v[44:45], v[44:45], -v[52:53]
	;; [unrolled: 2-line block ×3, first 2 shown]
	v_mul_f64 v[71:72], v[71:72], s[18:19]
	v_add_f64 v[69:70], v[69:70], v[52:53]
	v_add_f64 v[52:53], v[59:60], -v[57:58]
	v_add_f64 v[212:213], v[78:79], -v[198:199]
	v_add_f64 v[204:205], v[198:199], v[78:79]
	v_add_f64 v[78:79], v[234:235], -v[238:239]
	v_fma_f64 v[196:197], v[44:45], s[12:13], -v[71:72]
	v_mul_f64 v[44:45], v[44:45], s[12:13]
	v_fma_f64 v[54:55], v[52:53], s[26:27], -v[54:55]
	v_mul_f64 v[57:58], v[78:79], s[22:23]
	v_fma_f64 v[196:197], v[69:70], s[4:5], v[196:197]
	v_fma_f64 v[44:45], v[46:47], s[26:27], -v[44:45]
	v_fma_f64 v[54:55], v[73:74], s[4:5], v[54:55]
	v_fma_f64 v[61:62], v[61:62], s[24:25], -v[57:58]
	v_add_f64 v[214:215], v[196:197], v[84:85]
	v_add_f64 v[206:207], v[84:85], -v[196:197]
	v_add_f64 v[84:85], v[242:243], -v[246:247]
	v_fma_f64 v[44:45], v[69:70], s[4:5], v[44:45]
	v_add_f64 v[61:62], v[61:62], v[86:87]
	v_mul_f64 v[59:60], v[84:85], s[22:23]
	v_add_f64 v[216:217], v[54:55], v[61:62]
	v_add_f64 v[196:197], v[61:62], -v[54:55]
	v_fma_f64 v[65:66], v[65:66], s[24:25], -v[59:60]
	v_fma_f64 v[54:55], v[67:68], s[2:3], v[59:60]
	v_add_f64 v[65:66], v[65:66], v[200:201]
	v_add_f64 v[54:55], v[54:55], v[200:201]
	v_add_f64 v[218:219], v[65:66], -v[44:45]
	v_add_f64 v[198:199], v[44:45], v[65:66]
	v_fma_f64 v[44:45], v[46:47], s[20:21], v[71:72]
	v_fma_f64 v[46:47], v[52:53], s[20:21], v[75:76]
	;; [unrolled: 1-line block ×3, first 2 shown]
	s_add_u32 s2, s6, 0x1110
	s_addc_u32 s3, s7, 0
	v_fma_f64 v[44:45], v[69:70], s[4:5], v[44:45]
	v_fma_f64 v[46:47], v[73:74], s[4:5], v[46:47]
	v_add_f64 v[52:53], v[52:53], v[86:87]
	v_add_f64 v[222:223], v[54:55], -v[44:45]
	v_add_f64 v[202:203], v[44:45], v[54:55]
	v_add_f64 v[220:221], v[46:47], v[52:53]
	v_add_f64 v[200:201], v[52:53], -v[46:47]
	s_waitcnt vmcnt(0)
	v_lshl_add_u32 v20, v0, 4, v39
	ds_write_b128 v166, v[208:211] offset:416
	ds_write_b128 v166, v[192:195] offset:3952
	;; [unrolled: 1-line block ×8, first 2 shown]
	s_waitcnt lgkmcnt(0)
	s_waitcnt_vscnt null, 0x0
	s_barrier
	buffer_gl0_inv
	s_clause 0x1
	global_load_dwordx4 v[0:3], v39, s[2:3]
	global_load_dwordx4 v[4:7], v39, s[2:3] offset:336
	ds_read_b128 v[8:11], v166
	ds_read_b128 v[12:15], v166 offset:336
	s_waitcnt vmcnt(1) lgkmcnt(1)
	v_mul_f64 v[16:17], v[10:11], v[2:3]
	v_mul_f64 v[2:3], v[8:9], v[2:3]
	v_fma_f64 v[8:9], v[8:9], v[0:1], -v[16:17]
	v_fma_f64 v[10:11], v[10:11], v[0:1], v[2:3]
	s_waitcnt vmcnt(0) lgkmcnt(0)
	v_mul_f64 v[0:1], v[14:15], v[6:7]
	v_mul_f64 v[2:3], v[12:13], v[6:7]
	v_fma_f64 v[12:13], v[12:13], v[4:5], -v[0:1]
	v_fma_f64 v[14:15], v[14:15], v[4:5], v[2:3]
	s_clause 0x1
	global_load_dwordx4 v[0:3], v39, s[2:3] offset:672
	global_load_dwordx4 v[4:7], v39, s[2:3] offset:1008
	ds_read_b128 v[16:19], v166 offset:672
	ds_read_b128 v[21:24], v166 offset:1008
	s_waitcnt vmcnt(1) lgkmcnt(1)
	v_mul_f64 v[25:26], v[18:19], v[2:3]
	v_mul_f64 v[2:3], v[16:17], v[2:3]
	v_fma_f64 v[16:17], v[16:17], v[0:1], -v[25:26]
	v_fma_f64 v[18:19], v[18:19], v[0:1], v[2:3]
	s_waitcnt vmcnt(0) lgkmcnt(0)
	v_mul_f64 v[0:1], v[23:24], v[6:7]
	v_mul_f64 v[2:3], v[21:22], v[6:7]
	v_fma_f64 v[21:22], v[21:22], v[4:5], -v[0:1]
	v_fma_f64 v[23:24], v[23:24], v[4:5], v[2:3]
	s_clause 0x1
	global_load_dwordx4 v[0:3], v39, s[2:3] offset:1344
	global_load_dwordx4 v[4:7], v39, s[2:3] offset:1680
	ds_read_b128 v[25:28], v166 offset:1344
	ds_read_b128 v[29:32], v166 offset:1680
	s_waitcnt vmcnt(1) lgkmcnt(1)
	v_mul_f64 v[33:34], v[27:28], v[2:3]
	v_mul_f64 v[2:3], v[25:26], v[2:3]
	v_fma_f64 v[25:26], v[25:26], v[0:1], -v[33:34]
	v_fma_f64 v[27:28], v[27:28], v[0:1], v[2:3]
	s_waitcnt vmcnt(0) lgkmcnt(0)
	v_mul_f64 v[0:1], v[31:32], v[6:7]
	v_mul_f64 v[2:3], v[29:30], v[6:7]
	v_fma_f64 v[29:30], v[29:30], v[4:5], -v[0:1]
	v_fma_f64 v[31:32], v[31:32], v[4:5], v[2:3]
	global_load_dwordx4 v[0:3], v39, s[2:3] offset:2016
	ds_read_b128 v[4:7], v166 offset:2016
	ds_read_b128 v[33:36], v166 offset:2352
	s_waitcnt vmcnt(0) lgkmcnt(1)
	v_mul_f64 v[37:38], v[6:7], v[2:3]
	v_mul_f64 v[2:3], v[4:5], v[2:3]
	v_fma_f64 v[4:5], v[4:5], v[0:1], -v[37:38]
	v_fma_f64 v[6:7], v[6:7], v[0:1], v[2:3]
	v_add_co_u32 v0, s0, s2, v39
	v_add_co_ci_u32_e64 v1, null, s3, 0, s0
	v_add_co_u32 v2, s0, 0x800, v0
	v_add_co_ci_u32_e64 v3, s0, 0, v1, s0
	s_clause 0x1
	global_load_dwordx4 v[37:40], v[2:3], off offset:304
	global_load_dwordx4 v[41:44], v[2:3], off offset:640
	s_waitcnt vmcnt(1) lgkmcnt(0)
	v_mul_f64 v[45:46], v[35:36], v[39:40]
	v_mul_f64 v[39:40], v[33:34], v[39:40]
	v_fma_f64 v[33:34], v[33:34], v[37:38], -v[45:46]
	v_fma_f64 v[35:36], v[35:36], v[37:38], v[39:40]
	ds_read_b128 v[37:40], v166 offset:2688
	ds_read_b128 v[57:60], v166 offset:3024
	s_waitcnt vmcnt(0) lgkmcnt(1)
	v_mul_f64 v[45:46], v[39:40], v[43:44]
	v_mul_f64 v[43:44], v[37:38], v[43:44]
	v_fma_f64 v[37:38], v[37:38], v[41:42], -v[45:46]
	v_fma_f64 v[39:40], v[39:40], v[41:42], v[43:44]
	s_clause 0x1
	global_load_dwordx4 v[41:44], v[2:3], off offset:976
	global_load_dwordx4 v[61:64], v[2:3], off offset:1312
	s_waitcnt vmcnt(1) lgkmcnt(0)
	v_mul_f64 v[45:46], v[59:60], v[43:44]
	v_mul_f64 v[52:53], v[57:58], v[43:44]
	v_fma_f64 v[43:44], v[57:58], v[41:42], -v[45:46]
	v_fma_f64 v[45:46], v[59:60], v[41:42], v[52:53]
	ds_read_b128 v[57:60], v166 offset:3360
	ds_read_b128 v[65:68], v166 offset:3696
	s_waitcnt vmcnt(0) lgkmcnt(1)
	v_mul_f64 v[41:42], v[59:60], v[63:64]
	v_mul_f64 v[52:53], v[57:58], v[63:64]
	v_fma_f64 v[57:58], v[57:58], v[61:62], -v[41:42]
	v_fma_f64 v[59:60], v[59:60], v[61:62], v[52:53]
	s_clause 0x1
	global_load_dwordx4 v[61:64], v[2:3], off offset:1648
	global_load_dwordx4 v[224:227], v[2:3], off offset:1984
	s_waitcnt vmcnt(1) lgkmcnt(0)
	v_mul_f64 v[41:42], v[67:68], v[63:64]
	v_mul_f64 v[52:53], v[65:66], v[63:64]
	v_fma_f64 v[63:64], v[65:66], v[61:62], -v[41:42]
	v_fma_f64 v[65:66], v[67:68], v[61:62], v[52:53]
	ds_read_b128 v[67:70], v166 offset:4032
	s_waitcnt vmcnt(0) lgkmcnt(0)
	v_mul_f64 v[41:42], v[69:70], v[226:227]
	v_mul_f64 v[52:53], v[67:68], v[226:227]
	v_fma_f64 v[67:68], v[67:68], v[224:225], -v[41:42]
	v_fma_f64 v[69:70], v[69:70], v[224:225], v[52:53]
	ds_write_b128 v166, v[8:11]
	ds_write_b128 v166, v[12:15] offset:336
	ds_write_b128 v166, v[16:19] offset:672
	;; [unrolled: 1-line block ×12, first 2 shown]
	s_and_saveexec_b32 s1, vcc_lo
	s_cbranch_execz .LBB0_9
; %bb.8:
	s_clause 0x8
	global_load_dwordx4 v[4:7], v[0:1], off offset:208
	global_load_dwordx4 v[8:11], v[0:1], off offset:544
	;; [unrolled: 1-line block ×9, first 2 shown]
	buffer_load_dword v41, off, s[48:51], 0 ; 4-byte Folded Reload
	v_add_co_u32 v45, s0, 0x1000, v0
	v_add_co_ci_u32_e64 v46, s0, 0, v1, s0
	s_waitcnt vmcnt(0)
	v_lshl_or_b32 v47, v41, 4, 0xa00
	s_clause 0x3
	global_load_dwordx4 v[41:44], v[2:3], off offset:1520
	global_load_dwordx4 v[57:60], v[2:3], off offset:1856
	global_load_dwordx4 v[0:3], v47, s[2:3]
	global_load_dwordx4 v[61:64], v[45:46], off offset:144
	ds_read_b128 v[65:68], v166 offset:208
	ds_read_b128 v[224:227], v166 offset:544
	;; [unrolled: 1-line block ×13, first 2 shown]
	s_waitcnt lgkmcnt(12)
	v_mul_f64 v[45:46], v[67:68], v[6:7]
	v_mul_f64 v[6:7], v[65:66], v[6:7]
	s_waitcnt lgkmcnt(11)
	v_mul_f64 v[78:79], v[226:227], v[10:11]
	v_mul_f64 v[10:11], v[224:225], v[10:11]
	;; [unrolled: 3-line block ×5, first 2 shown]
	v_fma_f64 v[65:66], v[65:66], v[4:5], -v[45:46]
	v_mul_f64 v[45:46], v[238:239], v[23:24]
	v_mul_f64 v[23:24], v[236:237], v[23:24]
	v_fma_f64 v[67:68], v[67:68], v[4:5], v[6:7]
	v_fma_f64 v[4:5], v[224:225], v[8:9], -v[78:79]
	s_waitcnt lgkmcnt(6)
	v_mul_f64 v[78:79], v[246:247], v[31:32]
	v_mul_f64 v[31:32], v[244:245], v[31:32]
	s_waitcnt lgkmcnt(5)
	v_mul_f64 v[224:225], v[250:251], v[35:36]
	v_mul_f64 v[35:36], v[248:249], v[35:36]
	v_fma_f64 v[6:7], v[226:227], v[8:9], v[10:11]
	v_fma_f64 v[8:9], v[228:229], v[12:13], -v[164:165]
	s_waitcnt lgkmcnt(4)
	v_mul_f64 v[164:165], v[254:255], v[39:40]
	v_mul_f64 v[39:40], v[252:253], v[39:40]
	v_fma_f64 v[10:11], v[230:231], v[12:13], v[14:15]
	v_fma_f64 v[12:13], v[232:233], v[16:17], -v[92:93]
	v_fma_f64 v[14:15], v[234:235], v[16:17], v[18:19]
	v_fma_f64 v[16:17], v[236:237], v[21:22], -v[45:46]
	;; [unrolled: 2-line block ×6, first 2 shown]
	v_fma_f64 v[35:36], v[254:255], v[37:38], v[39:40]
	s_waitcnt vmcnt(3) lgkmcnt(2)
	v_mul_f64 v[226:227], v[71:72], v[43:44]
	v_mul_f64 v[43:44], v[69:70], v[43:44]
	s_waitcnt vmcnt(2) lgkmcnt(1)
	v_mul_f64 v[92:93], v[75:76], v[59:60]
	v_mul_f64 v[59:60], v[73:74], v[59:60]
	s_waitcnt vmcnt(1)
	v_mul_f64 v[228:229], v[54:55], v[2:3]
	v_mul_f64 v[2:3], v[52:53], v[2:3]
	s_waitcnt vmcnt(0) lgkmcnt(0)
	v_mul_f64 v[45:46], v[86:87], v[63:64]
	v_mul_f64 v[63:64], v[84:85], v[63:64]
	v_fma_f64 v[37:38], v[69:70], v[41:42], -v[226:227]
	v_fma_f64 v[39:40], v[71:72], v[41:42], v[43:44]
	v_fma_f64 v[41:42], v[73:74], v[57:58], -v[92:93]
	v_fma_f64 v[43:44], v[75:76], v[57:58], v[59:60]
	;; [unrolled: 2-line block ×4, first 2 shown]
	ds_write_b128 v166, v[65:68] offset:208
	ds_write_b128 v166, v[4:7] offset:544
	;; [unrolled: 1-line block ×13, first 2 shown]
.LBB0_9:
	s_or_b32 exec_lo, exec_lo, s1
	s_waitcnt lgkmcnt(0)
	s_barrier
	buffer_gl0_inv
	ds_read_b128 v[244:247], v166
	ds_read_b128 v[16:19], v166 offset:336
	ds_read_b128 v[12:15], v166 offset:672
	;; [unrolled: 1-line block ×12, first 2 shown]
	s_and_saveexec_b32 s0, vcc_lo
	s_cbranch_execz .LBB0_11
; %bb.10:
	s_clause 0x1
	buffer_load_dword v21, off, s[48:51], 0
	buffer_load_dword v22, off, s[48:51], 0 offset:320
	s_waitcnt vmcnt(0)
	v_lshl_add_u32 v21, v21, 4, v22
	ds_read_b128 v[192:195], v166 offset:208
	ds_read_b128 v[208:211], v21 offset:544
	ds_read_b128 v[220:223], v21 offset:880
	ds_read_b128 v[216:219], v21 offset:1216
	ds_read_b128 v[212:215], v21 offset:1552
	ds_read_b128 v[204:207], v21 offset:1888
	ds_read_b128 v[196:199], v21 offset:2224
	ds_read_b128 v[200:203], v21 offset:2560
	ds_read_b128 v[22:25], v21 offset:2896
	s_waitcnt lgkmcnt(0)
	buffer_store_dword v22, off, s[48:51], 0 offset:72 ; 4-byte Folded Spill
	buffer_store_dword v23, off, s[48:51], 0 offset:76 ; 4-byte Folded Spill
	buffer_store_dword v24, off, s[48:51], 0 offset:80 ; 4-byte Folded Spill
	buffer_store_dword v25, off, s[48:51], 0 offset:84 ; 4-byte Folded Spill
	ds_read_b128 v[22:25], v21 offset:3232
	s_waitcnt lgkmcnt(0)
	buffer_store_dword v22, off, s[48:51], 0 offset:56 ; 4-byte Folded Spill
	buffer_store_dword v23, off, s[48:51], 0 offset:60 ; 4-byte Folded Spill
	buffer_store_dword v24, off, s[48:51], 0 offset:64 ; 4-byte Folded Spill
	buffer_store_dword v25, off, s[48:51], 0 offset:68 ; 4-byte Folded Spill
	ds_read_b128 v[22:25], v21 offset:3568
	;; [unrolled: 6-line block ×4, first 2 shown]
	s_waitcnt lgkmcnt(0)
	buffer_store_dword v21, off, s[48:51], 0 offset:8 ; 4-byte Folded Spill
	buffer_store_dword v22, off, s[48:51], 0 offset:12 ; 4-byte Folded Spill
	;; [unrolled: 1-line block ×4, first 2 shown]
.LBB0_11:
	s_or_b32 exec_lo, exec_lo, s0
	s_waitcnt lgkmcnt(11)
	v_add_f64 v[21:22], v[244:245], v[16:17]
	v_add_f64 v[23:24], v[246:247], v[18:19]
	s_waitcnt lgkmcnt(0)
	v_add_f64 v[27:28], v[18:19], v[242:243]
	v_add_f64 v[18:19], v[18:19], -v[242:243]
	s_mov_b32 s40, 0x4267c47c
	s_mov_b32 s0, 0xe00740e9
	;; [unrolled: 1-line block ×18, first 2 shown]
	v_add_f64 v[21:22], v[21:22], v[12:13]
	v_add_f64 v[23:24], v[23:24], v[14:15]
	s_mov_b32 s35, 0xbfedeba7
	s_mov_b32 s29, 0xbfd6b1d8
	;; [unrolled: 1-line block ×6, first 2 shown]
	v_add_f64 v[25:26], v[16:17], v[240:241]
	v_add_f64 v[16:17], v[16:17], -v[240:241]
	v_add_f64 v[31:32], v[14:15], v[250:251]
	v_mul_f64 v[41:42], v[18:19], s[40:41]
	v_mul_f64 v[43:44], v[27:28], s[0:1]
	;; [unrolled: 1-line block ×11, first 2 shown]
	v_add_f64 v[21:22], v[21:22], v[8:9]
	v_add_f64 v[23:24], v[23:24], v[10:11]
	v_mul_f64 v[27:28], v[27:28], s[4:5]
	v_add_f64 v[14:15], v[14:15], -v[250:251]
	v_add_f64 v[37:38], v[4:5], v[0:1]
	v_add_f64 v[39:40], v[6:7], v[2:3]
	s_mov_b32 s13, 0x3fddbe06
	s_mov_b32 s23, 0x3fea55e2
	;; [unrolled: 1-line block ×12, first 2 shown]
	v_add_f64 v[29:30], v[12:13], v[248:249]
	v_add_f64 v[12:13], v[12:13], -v[248:249]
	v_fma_f64 v[84:85], v[25:26], s[0:1], v[41:42]
	v_fma_f64 v[86:87], v[16:17], s[12:13], v[43:44]
	v_add_f64 v[21:22], v[21:22], v[4:5]
	v_add_f64 v[23:24], v[23:24], v[6:7]
	v_add_f64 v[4:5], v[4:5], -v[0:1]
	v_add_f64 v[6:7], v[6:7], -v[2:3]
	v_fma_f64 v[41:42], v[25:26], s[0:1], -v[41:42]
	v_fma_f64 v[43:44], v[16:17], s[40:41], v[43:44]
	v_fma_f64 v[92:93], v[25:26], s[2:3], v[45:46]
	;; [unrolled: 1-line block ×6, first 2 shown]
	v_fma_f64 v[59:60], v[25:26], s[28:29], -v[59:60]
	v_fma_f64 v[61:62], v[16:17], s[34:35], v[61:62]
	v_fma_f64 v[98:99], v[25:26], s[16:17], v[63:64]
	;; [unrolled: 1-line block ×3, first 2 shown]
	v_fma_f64 v[63:64], v[25:26], s[16:17], -v[63:64]
	v_fma_f64 v[65:66], v[16:17], s[26:27], v[65:66]
	v_fma_f64 v[102:103], v[25:26], s[4:5], v[18:19]
	v_fma_f64 v[18:19], v[25:26], s[4:5], -v[18:19]
	v_mul_f64 v[67:68], v[14:15], s[18:19]
	v_mul_f64 v[69:70], v[14:15], s[34:35]
	v_mul_f64 v[71:72], v[14:15], s[24:25]
	v_add_f64 v[21:22], v[21:22], v[232:233]
	v_add_f64 v[23:24], v[23:24], v[234:235]
	v_mul_f64 v[73:74], v[14:15], s[38:39]
	v_mul_f64 v[75:76], v[14:15], s[30:31]
	;; [unrolled: 1-line block ×4, first 2 shown]
	v_add_f64 v[35:36], v[10:11], v[254:255]
	v_add_f64 v[10:11], v[10:11], -v[254:255]
	v_mul_f64 v[104:105], v[31:32], s[16:17]
	v_add_f64 v[33:34], v[8:9], v[252:253]
	v_add_f64 v[8:9], v[8:9], -v[252:253]
	v_add_f64 v[84:85], v[244:245], v[84:85]
	v_add_f64 v[86:87], v[246:247], v[86:87]
	;; [unrolled: 1-line block ×19, first 2 shown]
	v_mul_f64 v[106:107], v[31:32], s[20:21]
	v_fma_f64 v[108:109], v[12:13], s[22:23], v[78:79]
	v_fma_f64 v[114:115], v[12:13], s[26:27], v[104:105]
	;; [unrolled: 1-line block ×4, first 2 shown]
	s_waitcnt_vscnt null, 0x0
	s_barrier
	buffer_gl0_inv
	v_add_f64 v[21:22], v[21:22], v[228:229]
	v_add_f64 v[23:24], v[23:24], v[230:231]
	v_fma_f64 v[116:117], v[12:13], s[36:37], v[106:107]
	v_fma_f64 v[106:107], v[12:13], s[30:31], v[106:107]
	v_add_f64 v[96:97], v[114:115], v[96:97]
	v_add_f64 v[61:62], v[104:105], v[61:62]
	;; [unrolled: 1-line block ×7, first 2 shown]
	v_mul_f64 v[116:117], v[6:7], s[34:35]
	v_add_f64 v[0:1], v[21:22], v[0:1]
	v_add_f64 v[2:3], v[23:24], v[2:3]
	v_fma_f64 v[21:22], v[16:17], s[22:23], v[52:53]
	v_fma_f64 v[23:24], v[25:26], s[2:3], -v[45:46]
	v_fma_f64 v[45:46], v[16:17], s[18:19], v[52:53]
	v_fma_f64 v[52:53], v[25:26], s[20:21], v[54:55]
	v_fma_f64 v[54:55], v[25:26], s[20:21], -v[54:55]
	v_fma_f64 v[25:26], v[16:17], s[42:43], v[27:28]
	v_fma_f64 v[16:17], v[16:17], s[24:25], v[27:28]
	v_mul_f64 v[27:28], v[31:32], s[28:29]
	v_add_f64 v[0:1], v[0:1], v[252:253]
	v_add_f64 v[2:3], v[2:3], v[254:255]
	v_fma_f64 v[252:253], v[29:30], s[2:3], v[67:68]
	v_fma_f64 v[67:68], v[29:30], s[2:3], -v[67:68]
	v_add_f64 v[45:46], v[246:247], v[45:46]
	v_fma_f64 v[254:255], v[29:30], s[28:29], v[69:70]
	v_fma_f64 v[69:70], v[29:30], s[28:29], -v[69:70]
	v_add_f64 v[21:22], v[246:247], v[21:22]
	v_add_f64 v[23:24], v[244:245], v[23:24]
	v_fma_f64 v[110:111], v[12:13], s[44:45], v[27:28]
	v_fma_f64 v[27:28], v[12:13], s[34:35], v[27:28]
	v_add_f64 v[52:53], v[244:245], v[52:53]
	v_add_f64 v[54:55], v[244:245], v[54:55]
	;; [unrolled: 1-line block ×4, first 2 shown]
	v_fma_f64 v[244:245], v[29:30], s[4:5], v[71:72]
	v_fma_f64 v[71:72], v[29:30], s[4:5], -v[71:72]
	v_fma_f64 v[246:247], v[29:30], s[16:17], v[73:74]
	v_fma_f64 v[73:74], v[29:30], s[16:17], -v[73:74]
	v_add_f64 v[0:1], v[0:1], v[248:249]
	v_add_f64 v[2:3], v[2:3], v[250:251]
	v_fma_f64 v[248:249], v[29:30], s[20:21], v[75:76]
	v_fma_f64 v[75:76], v[29:30], s[20:21], -v[75:76]
	v_fma_f64 v[250:251], v[29:30], s[0:1], v[14:15]
	v_fma_f64 v[14:15], v[29:30], s[0:1], -v[14:15]
	v_mul_f64 v[29:30], v[31:32], s[4:5]
	v_mul_f64 v[31:32], v[31:32], s[0:1]
	v_add_f64 v[23:24], v[69:70], v[23:24]
	v_mul_f64 v[69:70], v[35:36], s[20:21]
	v_add_f64 v[27:28], v[27:28], v[45:46]
	;; [unrolled: 2-line block ×3, first 2 shown]
	v_add_f64 v[21:22], v[110:111], v[21:22]
	v_add_f64 v[67:68], v[254:255], v[92:93]
	;; [unrolled: 1-line block ×4, first 2 shown]
	v_mul_f64 v[71:72], v[35:36], s[4:5]
	v_add_f64 v[59:60], v[73:74], v[59:60]
	v_mul_f64 v[73:74], v[35:36], s[0:1]
	v_add_f64 v[92:93], v[246:247], v[164:165]
	v_add_f64 v[0:1], v[0:1], v[240:241]
	;; [unrolled: 1-line block ×5, first 2 shown]
	v_mul_f64 v[75:76], v[35:36], s[2:3]
	v_add_f64 v[14:15], v[14:15], v[18:19]
	v_fma_f64 v[112:113], v[12:13], s[42:43], v[29:30]
	v_fma_f64 v[29:30], v[12:13], s[24:25], v[29:30]
	;; [unrolled: 1-line block ×4, first 2 shown]
	v_add_f64 v[31:32], v[252:253], v[84:85]
	v_add_f64 v[84:85], v[108:109], v[86:87]
	v_mul_f64 v[86:87], v[10:11], s[24:25]
	v_mul_f64 v[108:109], v[10:11], s[12:13]
	v_fma_f64 v[104:105], v[33:34], s[20:21], v[45:46]
	v_fma_f64 v[45:46], v[33:34], s[20:21], -v[45:46]
	v_fma_f64 v[110:111], v[8:9], s[30:31], v[69:70]
	v_fma_f64 v[69:70], v[8:9], s[36:37], v[69:70]
	;; [unrolled: 1-line block ×4, first 2 shown]
	v_mul_f64 v[18:19], v[39:40], s[28:29]
	v_add_f64 v[102:103], v[250:251], v[102:103]
	v_add_f64 v[78:79], v[112:113], v[94:95]
	;; [unrolled: 1-line block ×3, first 2 shown]
	v_mul_f64 v[57:58], v[10:11], s[44:45]
	v_mul_f64 v[94:95], v[35:36], s[28:29]
	;; [unrolled: 1-line block ×4, first 2 shown]
	v_fma_f64 v[106:107], v[33:34], s[4:5], v[86:87]
	v_fma_f64 v[86:87], v[33:34], s[4:5], -v[86:87]
	v_mul_f64 v[35:36], v[35:36], s[16:17]
	v_add_f64 v[41:42], v[45:46], v[41:42]
	v_fma_f64 v[45:46], v[33:34], s[0:1], v[108:109]
	v_add_f64 v[12:13], v[12:13], v[16:17]
	v_add_f64 v[43:44], v[69:70], v[43:44]
	v_fma_f64 v[69:70], v[8:9], s[40:41], v[73:74]
	v_add_f64 v[31:32], v[104:105], v[31:32]
	v_add_f64 v[25:26], v[118:119], v[25:26]
	;; [unrolled: 1-line block ×3, first 2 shown]
	v_mul_f64 v[110:111], v[6:7], s[38:39]
	v_add_f64 v[21:22], v[114:115], v[21:22]
	v_fma_f64 v[114:115], v[8:9], s[22:23], v[75:76]
	v_fma_f64 v[75:76], v[8:9], s[18:19], v[75:76]
	v_add_f64 v[27:28], v[71:72], v[27:28]
	v_fma_f64 v[108:109], v[33:34], s[0:1], -v[108:109]
	v_fma_f64 v[73:74], v[8:9], s[12:13], v[73:74]
	v_fma_f64 v[16:17], v[33:34], s[28:29], v[57:58]
	v_fma_f64 v[57:58], v[33:34], s[28:29], -v[57:58]
	v_fma_f64 v[104:105], v[8:9], s[34:35], v[94:95]
	v_fma_f64 v[94:95], v[8:9], s[44:45], v[94:95]
	v_add_f64 v[67:68], v[106:107], v[67:68]
	v_add_f64 v[23:24], v[86:87], v[23:24]
	v_fma_f64 v[86:87], v[33:34], s[16:17], v[10:11]
	v_fma_f64 v[10:11], v[33:34], s[16:17], -v[10:11]
	v_fma_f64 v[71:72], v[8:9], s[38:39], v[35:36]
	v_fma_f64 v[106:107], v[33:34], s[2:3], v[112:113]
	v_fma_f64 v[112:113], v[33:34], s[2:3], -v[112:113]
	v_add_f64 v[33:34], v[45:46], v[92:93]
	v_mul_f64 v[45:46], v[39:40], s[16:17]
	v_fma_f64 v[8:9], v[8:9], s[26:27], v[35:36]
	v_add_f64 v[35:36], v[69:70], v[96:97]
	v_fma_f64 v[69:70], v[4:5], s[44:45], v[18:19]
	v_fma_f64 v[92:93], v[37:38], s[28:29], -v[116:117]
	v_fma_f64 v[18:19], v[4:5], s[34:35], v[18:19]
	v_mul_f64 v[96:97], v[39:40], s[0:1]
	v_add_f64 v[65:66], v[75:76], v[65:66]
	v_add_f64 v[59:60], v[108:109], v[59:60]
	;; [unrolled: 1-line block ×5, first 2 shown]
	v_fma_f64 v[57:58], v[37:38], s[28:29], v[116:117]
	v_add_f64 v[29:30], v[94:95], v[29:30]
	v_mul_f64 v[94:95], v[6:7], s[12:13]
	v_add_f64 v[52:53], v[104:105], v[78:79]
	v_add_f64 v[75:76], v[86:87], v[102:103]
	;; [unrolled: 1-line block ×3, first 2 shown]
	v_add_f64 v[14:15], v[234:235], -v[238:239]
	v_add_f64 v[25:26], v[71:72], v[25:26]
	v_fma_f64 v[71:72], v[37:38], s[16:17], v[110:111]
	v_mul_f64 v[86:87], v[6:7], s[36:37]
	v_add_f64 v[78:79], v[114:115], v[100:101]
	v_fma_f64 v[100:101], v[4:5], s[26:27], v[45:46]
	v_add_f64 v[8:9], v[8:9], v[12:13]
	v_add_f64 v[12:13], v[234:235], v[238:239]
	v_fma_f64 v[45:46], v[4:5], s[38:39], v[45:46]
	v_mul_f64 v[102:103], v[39:40], s[4:5]
	v_add_f64 v[73:74], v[106:107], v[98:99]
	v_mul_f64 v[98:99], v[39:40], s[20:21]
	v_add_f64 v[41:42], v[92:93], v[41:42]
	v_add_f64 v[18:19], v[18:19], v[43:44]
	v_fma_f64 v[92:93], v[4:5], s[40:41], v[96:97]
	v_mul_f64 v[39:40], v[39:40], s[2:3]
	v_add_f64 v[31:32], v[57:58], v[31:32]
	v_add_f64 v[57:58], v[69:70], v[84:85]
	v_mul_f64 v[69:70], v[6:7], s[42:43]
	v_fma_f64 v[84:85], v[37:38], s[16:17], -v[110:111]
	v_fma_f64 v[43:44], v[37:38], s[0:1], v[94:95]
	v_fma_f64 v[94:95], v[37:38], s[0:1], -v[94:95]
	v_mul_f64 v[6:7], v[6:7], s[22:23]
	v_add_f64 v[106:107], v[232:233], v[236:237]
	v_mul_f64 v[108:109], v[14:15], s[26:27]
	v_add_f64 v[67:68], v[71:72], v[67:68]
	v_fma_f64 v[71:72], v[37:38], s[20:21], v[86:87]
	v_add_f64 v[21:22], v[100:101], v[21:22]
	v_add_f64 v[100:101], v[232:233], -v[236:237]
	v_mul_f64 v[110:111], v[12:13], s[16:17]
	v_fma_f64 v[86:87], v[37:38], s[20:21], -v[86:87]
	v_add_f64 v[63:64], v[112:113], v[63:64]
	v_fma_f64 v[96:97], v[4:5], s[12:13], v[96:97]
	v_add_f64 v[27:28], v[45:46], v[27:28]
	v_fma_f64 v[45:46], v[4:5], s[24:25], v[102:103]
	v_fma_f64 v[104:105], v[4:5], s[30:31], v[98:99]
	;; [unrolled: 1-line block ×4, first 2 shown]
	v_fma_f64 v[69:70], v[37:38], s[4:5], -v[69:70]
	v_add_f64 v[23:24], v[84:85], v[23:24]
	v_fma_f64 v[84:85], v[4:5], s[42:43], v[102:103]
	v_add_f64 v[16:17], v[43:44], v[16:17]
	v_add_f64 v[43:44], v[92:93], v[52:53]
	v_add_f64 v[52:53], v[94:95], v[54:55]
	v_fma_f64 v[54:55], v[37:38], s[2:3], v[6:7]
	v_fma_f64 v[92:93], v[4:5], s[18:19], v[39:40]
	v_fma_f64 v[6:7], v[37:38], s[2:3], -v[6:7]
	v_fma_f64 v[4:5], v[4:5], s[22:23], v[39:40]
	v_fma_f64 v[37:38], v[106:107], s[16:17], v[108:109]
	v_mul_f64 v[39:40], v[14:15], s[30:31]
	v_add_f64 v[33:34], v[71:72], v[33:34]
	v_mul_f64 v[71:72], v[12:13], s[20:21]
	v_fma_f64 v[94:95], v[100:101], s[38:39], v[110:111]
	v_add_f64 v[59:60], v[86:87], v[59:60]
	v_mul_f64 v[86:87], v[14:15], s[18:19]
	v_add_f64 v[29:30], v[96:97], v[29:30]
	v_mul_f64 v[96:97], v[12:13], s[2:3]
	;; [unrolled: 2-line block ×3, first 2 shown]
	v_add_f64 v[61:62], v[98:99], v[61:62]
	v_add_f64 v[63:64], v[69:70], v[63:64]
	v_fma_f64 v[69:70], v[106:107], s[16:17], -v[108:109]
	v_add_f64 v[65:66], v[84:85], v[65:66]
	v_mul_f64 v[84:85], v[12:13], s[4:5]
	v_fma_f64 v[98:99], v[100:101], s[26:27], v[110:111]
	v_add_f64 v[35:36], v[104:105], v[35:36]
	v_add_f64 v[54:55], v[54:55], v[75:76]
	;; [unrolled: 1-line block ×5, first 2 shown]
	v_add_f64 v[8:9], v[226:227], -v[230:231]
	v_add_f64 v[10:11], v[226:227], v[230:231]
	v_add_f64 v[31:32], v[37:38], v[31:32]
	v_fma_f64 v[37:38], v[106:107], s[20:21], v[39:40]
	v_fma_f64 v[75:76], v[100:101], s[36:37], v[71:72]
	;; [unrolled: 1-line block ×3, first 2 shown]
	v_mul_f64 v[92:93], v[14:15], s[12:13]
	v_add_f64 v[57:58], v[94:95], v[57:58]
	v_fma_f64 v[39:40], v[106:107], s[20:21], -v[39:40]
	v_fma_f64 v[94:95], v[106:107], s[2:3], v[86:87]
	v_mul_f64 v[104:105], v[12:13], s[0:1]
	v_fma_f64 v[102:103], v[100:101], s[22:23], v[96:97]
	v_fma_f64 v[86:87], v[106:107], s[2:3], -v[86:87]
	v_fma_f64 v[96:97], v[100:101], s[18:19], v[96:97]
	v_add_f64 v[41:42], v[69:70], v[41:42]
	v_fma_f64 v[69:70], v[106:107], s[4:5], v[78:79]
	v_mul_f64 v[14:15], v[14:15], s[34:35]
	v_mul_f64 v[12:13], v[12:13], s[28:29]
	v_fma_f64 v[78:79], v[106:107], s[4:5], -v[78:79]
	v_add_f64 v[73:74], v[112:113], v[73:74]
	v_add_f64 v[98:99], v[98:99], v[18:19]
	;; [unrolled: 1-line block ×3, first 2 shown]
	v_add_f64 v[110:111], v[224:225], -v[228:229]
	v_mul_f64 v[112:113], v[8:9], s[24:25]
	v_mul_f64 v[114:115], v[10:11], s[4:5]
	v_add_f64 v[37:38], v[37:38], v[67:68]
	v_fma_f64 v[67:68], v[100:101], s[42:43], v[84:85]
	v_add_f64 v[71:72], v[71:72], v[27:28]
	v_fma_f64 v[27:28], v[106:107], s[0:1], v[92:93]
	v_fma_f64 v[108:109], v[100:101], s[24:25], v[84:85]
	v_add_f64 v[23:24], v[39:40], v[23:24]
	v_add_f64 v[39:40], v[94:95], v[16:17]
	v_fma_f64 v[16:17], v[100:101], s[40:41], v[104:105]
	v_add_f64 v[21:22], v[75:76], v[21:22]
	v_add_f64 v[52:53], v[86:87], v[52:53]
	;; [unrolled: 1-line block ×3, first 2 shown]
	v_mul_f64 v[96:97], v[10:11], s[0:1]
	v_add_f64 v[33:34], v[69:70], v[33:34]
	v_fma_f64 v[69:70], v[100:101], s[12:13], v[104:105]
	v_fma_f64 v[84:85], v[106:107], s[28:29], v[14:15]
	;; [unrolled: 1-line block ×3, first 2 shown]
	v_fma_f64 v[14:15], v[106:107], s[28:29], -v[14:15]
	v_fma_f64 v[12:13], v[100:101], s[34:35], v[12:13]
	v_add_f64 v[59:60], v[78:79], v[59:60]
	v_mul_f64 v[78:79], v[8:9], s[12:13]
	v_fma_f64 v[29:30], v[106:107], s[0:1], -v[92:93]
	v_fma_f64 v[92:93], v[18:19], s[4:5], v[112:113]
	v_fma_f64 v[94:95], v[110:111], s[42:43], v[114:115]
	v_add_f64 v[67:68], v[67:68], v[61:62]
	v_mul_f64 v[61:62], v[8:9], s[26:27]
	v_mul_f64 v[100:101], v[10:11], s[16:17]
	v_add_f64 v[43:44], v[102:103], v[43:44]
	v_add_f64 v[27:28], v[27:28], v[73:74]
	v_mul_f64 v[73:74], v[8:9], s[22:23]
	v_mul_f64 v[102:103], v[10:11], s[2:3]
	v_add_f64 v[45:46], v[16:17], v[45:46]
	v_mul_f64 v[16:17], v[8:9], s[34:35]
	v_mul_f64 v[104:105], v[10:11], s[28:29]
	;; [unrolled: 1-line block ×4, first 2 shown]
	v_add_f64 v[65:66], v[69:70], v[65:66]
	v_add_f64 v[54:55], v[84:85], v[54:55]
	;; [unrolled: 1-line block ×5, first 2 shown]
	v_fma_f64 v[12:13], v[18:19], s[4:5], -v[112:113]
	v_fma_f64 v[14:15], v[18:19], s[0:1], v[78:79]
	v_fma_f64 v[25:26], v[110:111], s[40:41], v[96:97]
	v_add_f64 v[63:64], v[29:30], v[63:64]
	v_add_f64 v[4:5], v[92:93], v[31:32]
	;; [unrolled: 1-line block ×3, first 2 shown]
	v_fma_f64 v[29:30], v[18:19], s[0:1], -v[78:79]
	v_fma_f64 v[31:32], v[18:19], s[16:17], v[61:62]
	v_fma_f64 v[57:58], v[110:111], s[38:39], v[100:101]
	v_add_f64 v[35:36], v[108:109], v[35:36]
	v_fma_f64 v[78:79], v[18:19], s[2:3], v[73:74]
	v_fma_f64 v[92:93], v[110:111], s[18:19], v[102:103]
	v_fma_f64 v[61:62], v[18:19], s[16:17], -v[61:62]
	v_fma_f64 v[94:95], v[18:19], s[28:29], v[16:17]
	v_fma_f64 v[106:107], v[110:111], s[44:45], v[104:105]
	;; [unrolled: 1-line block ×4, first 2 shown]
	v_fma_f64 v[73:74], v[18:19], s[2:3], -v[73:74]
	v_fma_f64 v[108:109], v[18:19], s[28:29], -v[16:17]
	;; [unrolled: 1-line block ×3, first 2 shown]
	v_fma_f64 v[10:11], v[110:111], s[30:31], v[10:11]
	v_fma_f64 v[104:105], v[110:111], s[34:35], v[104:105]
	;; [unrolled: 1-line block ×6, first 2 shown]
	v_add_f64 v[8:9], v[12:13], v[41:42]
	v_add_f64 v[12:13], v[14:15], v[37:38]
	;; [unrolled: 1-line block ×22, first 2 shown]
	v_add_nc_u32_e32 v57, 0x1a0, v20
	ds_write_b128 v167, v[0:3]
	ds_write_b128 v167, v[4:7] offset:16
	ds_write_b128 v167, v[12:15] offset:32
	;; [unrolled: 1-line block ×12, first 2 shown]
	s_and_saveexec_b32 s33, vcc_lo
	s_cbranch_execz .LBB0_13
; %bb.12:
	s_clause 0x7
	buffer_load_dword v224, off, s[48:51], 0 offset:8
	buffer_load_dword v225, off, s[48:51], 0 offset:12
	;; [unrolled: 1-line block ×8, first 2 shown]
	v_add_f64 v[12:13], v[194:195], v[210:211]
	v_add_f64 v[14:15], v[192:193], v[208:209]
	v_add_f64 v[24:25], v[12:13], v[222:223]
	v_add_f64 v[26:27], v[14:15], v[220:221]
	v_add_f64 v[40:41], v[24:25], v[218:219]
	v_add_f64 v[42:43], v[26:27], v[216:217]
	v_add_f64 v[40:41], v[40:41], v[214:215]
	v_add_f64 v[42:43], v[42:43], v[212:213]
	v_add_f64 v[72:73], v[40:41], v[206:207]
	v_add_f64 v[42:43], v[42:43], v[204:205]
	v_add_f64 v[40:41], v[198:199], -v[202:203]
	v_mul_f64 v[98:99], v[40:41], s[30:31]
	s_waitcnt vmcnt(6)
	v_add_f64 v[0:1], v[208:209], -v[224:225]
	s_waitcnt vmcnt(4)
	v_add_f64 v[2:3], v[210:211], -v[226:227]
	v_add_f64 v[10:11], v[210:211], v[226:227]
	v_add_f64 v[8:9], v[208:209], v[224:225]
	s_clause 0x3
	buffer_load_dword v208, off, s[48:51], 0 offset:40
	buffer_load_dword v209, off, s[48:51], 0 offset:44
	;; [unrolled: 1-line block ×4, first 2 shown]
	s_waitcnt vmcnt(6)
	v_add_f64 v[6:7], v[220:221], -v[228:229]
	s_waitcnt vmcnt(4)
	v_add_f64 v[4:5], v[222:223], -v[230:231]
	v_add_f64 v[14:15], v[222:223], v[230:231]
	v_add_f64 v[12:13], v[220:221], v[228:229]
	s_clause 0x7
	buffer_load_dword v220, off, s[48:51], 0 offset:56
	buffer_load_dword v221, off, s[48:51], 0 offset:60
	;; [unrolled: 1-line block ×8, first 2 shown]
	v_mul_f64 v[20:21], v[0:1], s[24:25]
	v_mul_f64 v[22:23], v[2:3], s[24:25]
	;; [unrolled: 1-line block ×9, first 2 shown]
	v_fma_f64 v[30:31], v[10:11], s[4:5], v[20:21]
	v_fma_f64 v[34:35], v[8:9], s[4:5], -v[22:23]
	v_fma_f64 v[36:37], v[10:11], s[4:5], -v[20:21]
	v_fma_f64 v[38:39], v[8:9], s[4:5], v[22:23]
	v_fma_f64 v[94:95], v[10:11], s[16:17], v[74:75]
	;; [unrolled: 1-line block ×3, first 2 shown]
	v_fma_f64 v[58:59], v[12:13], s[0:1], -v[32:33]
	v_fma_f64 v[28:29], v[14:15], s[0:1], -v[28:29]
	v_fma_f64 v[64:65], v[12:13], s[0:1], v[32:33]
	v_fma_f64 v[74:75], v[10:11], s[16:17], -v[74:75]
	v_fma_f64 v[106:107], v[14:15], s[20:21], v[92:93]
	v_fma_f64 v[92:93], v[14:15], s[20:21], -v[92:93]
	v_add_f64 v[54:55], v[194:195], v[30:31]
	v_add_f64 v[60:61], v[192:193], v[34:35]
	;; [unrolled: 1-line block ×10, first 2 shown]
	v_add_f64 v[28:29], v[196:197], -v[200:201]
	v_add_f64 v[94:95], v[106:107], v[94:95]
	v_add_f64 v[74:75], v[92:93], v[74:75]
	v_mul_f64 v[96:97], v[28:29], s[30:31]
	s_waitcnt vmcnt(10)
	v_add_f64 v[18:19], v[216:217], -v[208:209]
	s_waitcnt vmcnt(8)
	v_add_f64 v[16:17], v[218:219], -v[210:211]
	v_add_f64 v[26:27], v[218:219], v[210:211]
	v_add_f64 v[24:25], v[216:217], v[208:209]
	s_waitcnt vmcnt(6)
	v_add_f64 v[22:23], v[212:213], -v[220:221]
	s_waitcnt vmcnt(4)
	v_add_f64 v[20:21], v[214:215], -v[222:223]
	;; [unrolled: 2-line block ×3, first 2 shown]
	v_add_f64 v[36:37], v[214:215], v[222:223]
	s_waitcnt vmcnt(0)
	v_add_f64 v[30:31], v[206:207], -v[118:119]
	v_add_f64 v[32:33], v[212:213], v[220:221]
	v_add_f64 v[38:39], v[206:207], v[118:119]
	v_mul_f64 v[44:45], v[18:19], s[26:27]
	v_mul_f64 v[46:47], v[16:17], s[26:27]
	;; [unrolled: 1-line block ×9, first 2 shown]
	v_fma_f64 v[70:71], v[26:27], s[16:17], v[44:45]
	v_fma_f64 v[54:55], v[24:25], s[16:17], -v[46:47]
	v_fma_f64 v[60:61], v[26:27], s[16:17], -v[44:45]
	v_fma_f64 v[46:47], v[24:25], s[16:17], v[46:47]
	v_add_f64 v[44:45], v[204:205], v[116:117]
	v_fma_f64 v[86:87], v[36:37], s[2:3], v[66:67]
	v_fma_f64 v[106:107], v[26:27], s[2:3], v[104:105]
	;; [unrolled: 1-line block ×3, first 2 shown]
	v_fma_f64 v[104:105], v[26:27], s[2:3], -v[104:105]
	v_add_f64 v[52:53], v[70:71], v[52:53]
	v_fma_f64 v[70:71], v[32:33], s[2:3], -v[68:69]
	v_add_f64 v[54:55], v[54:55], v[58:59]
	;; [unrolled: 2-line block ×3, first 2 shown]
	v_mul_f64 v[62:63], v[2:3], s[26:27]
	v_fma_f64 v[66:67], v[32:33], s[2:3], v[68:69]
	v_add_f64 v[64:65], v[46:47], v[64:65]
	v_add_f64 v[68:69], v[72:73], v[198:199]
	;; [unrolled: 1-line block ×7, first 2 shown]
	v_mul_f64 v[104:105], v[30:31], s[12:13]
	v_mul_f64 v[198:199], v[16:17], s[24:25]
	v_add_f64 v[52:53], v[86:87], v[52:53]
	v_fma_f64 v[86:87], v[44:45], s[28:29], -v[84:85]
	v_add_f64 v[54:55], v[70:71], v[54:55]
	v_fma_f64 v[70:71], v[38:39], s[28:29], -v[78:79]
	v_add_f64 v[58:59], v[58:59], v[60:61]
	v_mul_f64 v[60:61], v[4:5], s[30:31]
	v_fma_f64 v[78:79], v[8:9], s[16:17], -v[62:63]
	v_fma_f64 v[84:85], v[44:45], s[28:29], v[84:85]
	v_add_f64 v[64:65], v[66:67], v[64:65]
	v_mul_f64 v[66:67], v[2:3], s[34:35]
	v_add_f64 v[68:69], v[68:69], v[202:203]
	v_add_f64 v[72:73], v[72:73], v[200:201]
	v_fma_f64 v[62:63], v[8:9], s[16:17], v[62:63]
	v_fma_f64 v[114:115], v[46:47], s[20:21], -v[98:99]
	v_fma_f64 v[98:99], v[46:47], s[20:21], v[98:99]
	v_add_f64 v[52:53], v[100:101], v[52:53]
	v_fma_f64 v[100:101], v[42:43], s[20:21], v[96:97]
	v_add_f64 v[86:87], v[86:87], v[54:55]
	v_fma_f64 v[96:97], v[42:43], s[20:21], -v[96:97]
	v_add_f64 v[58:59], v[70:71], v[58:59]
	v_fma_f64 v[70:71], v[12:13], s[20:21], -v[60:61]
	v_add_f64 v[78:79], v[192:193], v[78:79]
	v_fma_f64 v[164:165], v[12:13], s[20:21], v[60:61]
	v_add_f64 v[64:65], v[84:85], v[64:65]
	v_fma_f64 v[84:85], v[10:11], s[28:29], v[102:103]
	v_add_f64 v[68:69], v[68:69], v[118:119]
	v_add_f64 v[72:73], v[72:73], v[116:117]
	v_mul_f64 v[116:117], v[22:23], s[42:43]
	v_fma_f64 v[118:119], v[8:9], s[28:29], -v[66:67]
	v_fma_f64 v[102:103], v[10:11], s[28:29], -v[102:103]
	v_add_f64 v[62:63], v[192:193], v[62:63]
	v_fma_f64 v[66:67], v[8:9], s[28:29], v[66:67]
	v_add_f64 v[54:55], v[100:101], v[52:53]
	v_add_f64 v[52:53], v[114:115], v[86:87]
	v_mul_f64 v[86:87], v[20:21], s[42:43]
	v_mul_f64 v[100:101], v[18:19], s[12:13]
	v_add_f64 v[60:61], v[96:97], v[58:59]
	v_add_f64 v[70:71], v[70:71], v[78:79]
	v_fma_f64 v[78:79], v[24:25], s[2:3], -v[108:109]
	v_add_f64 v[58:59], v[98:99], v[64:65]
	v_fma_f64 v[64:65], v[14:15], s[16:17], v[110:111]
	v_add_f64 v[84:85], v[194:195], v[84:85]
	v_fma_f64 v[96:97], v[12:13], s[16:17], -v[112:113]
	v_fma_f64 v[98:99], v[14:15], s[16:17], -v[110:111]
	v_add_f64 v[110:111], v[192:193], v[118:119]
	v_fma_f64 v[106:107], v[36:37], s[4:5], v[116:117]
	v_add_f64 v[102:103], v[194:195], v[102:103]
	v_add_f64 v[62:63], v[164:165], v[62:63]
	v_mul_f64 v[114:115], v[0:1], s[36:37]
	v_fma_f64 v[108:109], v[24:25], s[2:3], v[108:109]
	v_fma_f64 v[116:117], v[36:37], s[4:5], -v[116:117]
	v_fma_f64 v[112:113], v[12:13], s[16:17], v[112:113]
	v_add_f64 v[66:67], v[192:193], v[66:67]
	v_mul_f64 v[164:165], v[18:19], s[44:45]
	v_add_f64 v[68:69], v[68:69], v[222:223]
	v_add_f64 v[72:73], v[72:73], v[220:221]
	;; [unrolled: 1-line block ×3, first 2 shown]
	v_fma_f64 v[78:79], v[32:33], s[4:5], -v[86:87]
	v_fma_f64 v[86:87], v[32:33], s[4:5], v[86:87]
	v_add_f64 v[64:65], v[64:65], v[84:85]
	v_fma_f64 v[84:85], v[26:27], s[0:1], v[100:101]
	v_add_f64 v[96:97], v[96:97], v[110:111]
	v_mul_f64 v[110:111], v[6:7], s[24:25]
	v_add_f64 v[94:95], v[106:107], v[94:95]
	v_fma_f64 v[106:107], v[38:39], s[0:1], v[92:93]
	v_add_f64 v[98:99], v[98:99], v[102:103]
	v_fma_f64 v[102:103], v[10:11], s[20:21], v[114:115]
	v_add_f64 v[62:63], v[108:109], v[62:63]
	v_mul_f64 v[108:109], v[16:17], s[12:13]
	v_add_f64 v[74:75], v[116:117], v[74:75]
	v_fma_f64 v[116:117], v[44:45], s[0:1], -v[104:105]
	v_fma_f64 v[92:93], v[38:39], s[0:1], -v[92:93]
	v_add_f64 v[66:67], v[112:113], v[66:67]
	v_fma_f64 v[104:105], v[44:45], s[0:1], v[104:105]
	v_fma_f64 v[114:115], v[10:11], s[20:21], -v[114:115]
	v_add_f64 v[68:69], v[68:69], v[210:211]
	v_add_f64 v[72:73], v[72:73], v[208:209]
	v_add_f64 v[70:71], v[78:79], v[70:71]
	v_mul_f64 v[78:79], v[22:23], s[36:37]
	v_add_f64 v[64:65], v[84:85], v[64:65]
	v_mul_f64 v[84:85], v[2:3], s[36:37]
	v_add_f64 v[94:95], v[106:107], v[94:95]
	v_fma_f64 v[106:107], v[14:15], s[4:5], v[110:111]
	v_add_f64 v[102:103], v[194:195], v[102:103]
	v_add_f64 v[62:63], v[86:87], v[62:63]
	v_fma_f64 v[118:119], v[24:25], s[0:1], -v[108:109]
	v_fma_f64 v[86:87], v[26:27], s[0:1], -v[100:101]
	v_fma_f64 v[110:111], v[14:15], s[4:5], -v[110:111]
	v_add_f64 v[74:75], v[92:93], v[74:75]
	v_add_f64 v[114:115], v[194:195], v[114:115]
	;; [unrolled: 1-line block ×5, first 2 shown]
	v_fma_f64 v[92:93], v[36:37], s[20:21], v[78:79]
	v_mul_f64 v[116:117], v[4:5], s[24:25]
	v_fma_f64 v[78:79], v[36:37], s[20:21], -v[78:79]
	v_fma_f64 v[112:113], v[8:9], s[20:21], -v[84:85]
	v_fma_f64 v[84:85], v[8:9], s[20:21], v[84:85]
	v_add_f64 v[100:101], v[106:107], v[102:103]
	v_fma_f64 v[102:103], v[24:25], s[0:1], v[108:109]
	v_add_f64 v[96:97], v[118:119], v[96:97]
	v_fma_f64 v[106:107], v[26:27], s[28:29], v[164:165]
	v_mul_f64 v[108:109], v[20:21], s[36:37]
	v_mul_f64 v[118:119], v[34:35], s[42:43]
	v_add_f64 v[86:87], v[86:87], v[98:99]
	v_add_f64 v[62:63], v[104:105], v[62:63]
	v_mul_f64 v[104:105], v[22:23], s[12:13]
	v_add_f64 v[64:65], v[92:93], v[64:65]
	v_fma_f64 v[92:93], v[12:13], s[4:5], -v[116:117]
	v_add_f64 v[112:113], v[192:193], v[112:113]
	v_add_f64 v[84:85], v[192:193], v[84:85]
	;; [unrolled: 1-line block ×4, first 2 shown]
	v_fma_f64 v[100:101], v[32:33], s[20:21], -v[108:109]
	v_fma_f64 v[102:103], v[38:39], s[4:5], v[118:119]
	v_mul_f64 v[106:107], v[16:17], s[44:45]
	v_add_f64 v[78:79], v[78:79], v[86:87]
	v_add_f64 v[86:87], v[110:111], v[114:115]
	v_mul_f64 v[110:111], v[34:35], s[18:19]
	v_mul_f64 v[16:17], v[16:17], s[36:37]
	v_add_f64 v[92:93], v[92:93], v[112:113]
	v_mul_f64 v[112:113], v[30:31], s[42:43]
	v_add_f64 v[96:97], v[100:101], v[96:97]
	v_add_f64 v[64:65], v[102:103], v[64:65]
	v_fma_f64 v[100:101], v[32:33], s[20:21], v[108:109]
	v_fma_f64 v[102:103], v[36:37], s[0:1], v[104:105]
	v_fma_f64 v[108:109], v[24:25], s[28:29], -v[106:107]
	v_fma_f64 v[106:107], v[24:25], s[28:29], v[106:107]
	v_fma_f64 v[114:115], v[44:45], s[4:5], -v[112:113]
	v_fma_f64 v[112:113], v[44:45], s[4:5], v[112:113]
	v_add_f64 v[66:67], v[100:101], v[66:67]
	v_add_f64 v[98:99], v[102:103], v[98:99]
	;; [unrolled: 1-line block ×3, first 2 shown]
	v_fma_f64 v[100:101], v[26:27], s[28:29], -v[164:165]
	v_fma_f64 v[102:103], v[38:39], s[4:5], -v[118:119]
	v_fma_f64 v[108:109], v[12:13], s[4:5], v[116:117]
	v_mul_f64 v[116:117], v[20:21], s[12:13]
	v_fma_f64 v[118:119], v[38:39], s[2:3], v[110:111]
	v_mul_f64 v[164:165], v[2:3], s[40:41]
	v_mul_f64 v[2:3], v[2:3], s[18:19]
	v_fma_f64 v[110:111], v[38:39], s[2:3], -v[110:111]
	v_add_f64 v[96:97], v[114:115], v[96:97]
	v_mul_f64 v[114:115], v[0:1], s[18:19]
	v_mul_f64 v[0:1], v[0:1], s[40:41]
	v_add_f64 v[66:67], v[112:113], v[66:67]
	v_add_f64 v[86:87], v[100:101], v[86:87]
	;; [unrolled: 1-line block ×4, first 2 shown]
	v_fma_f64 v[100:101], v[32:33], s[0:1], -v[116:117]
	v_add_f64 v[98:99], v[118:119], v[98:99]
	v_fma_f64 v[102:103], v[36:37], s[0:1], -v[104:105]
	v_fma_f64 v[112:113], v[8:9], s[0:1], v[164:165]
	v_fma_f64 v[118:119], v[8:9], s[2:3], v[2:3]
	v_fma_f64 v[2:3], v[8:9], s[2:3], -v[2:3]
	v_fma_f64 v[104:105], v[10:11], s[2:3], -v[114:115]
	;; [unrolled: 1-line block ×3, first 2 shown]
	v_fma_f64 v[114:115], v[10:11], s[2:3], v[114:115]
	v_fma_f64 v[0:1], v[10:11], s[0:1], v[0:1]
	v_mul_f64 v[10:11], v[6:7], s[34:35]
	v_mul_f64 v[6:7], v[6:7], s[18:19]
	v_fma_f64 v[8:9], v[8:9], s[0:1], -v[164:165]
	v_mul_f64 v[164:165], v[4:5], s[18:19]
	v_mul_f64 v[4:5], v[4:5], s[34:35]
	v_add_f64 v[84:85], v[106:107], v[84:85]
	v_add_f64 v[92:93], v[100:101], v[92:93]
	v_mul_f64 v[100:101], v[18:19], s[24:25]
	v_add_f64 v[86:87], v[102:103], v[86:87]
	v_mul_f64 v[18:19], v[18:19], s[36:37]
	v_mul_f64 v[106:107], v[40:41], s[34:35]
	v_add_f64 v[2:3], v[192:193], v[2:3]
	v_add_f64 v[102:103], v[194:195], v[104:105]
	;; [unrolled: 1-line block ×6, first 2 shown]
	v_fma_f64 v[118:119], v[14:15], s[28:29], -v[10:11]
	v_fma_f64 v[196:197], v[14:15], s[2:3], -v[6:7]
	v_add_f64 v[0:1], v[194:195], v[0:1]
	v_fma_f64 v[194:195], v[12:13], s[2:3], v[164:165]
	v_add_f64 v[8:9], v[192:193], v[8:9]
	v_fma_f64 v[192:193], v[12:13], s[28:29], v[4:5]
	v_fma_f64 v[10:11], v[14:15], s[28:29], v[10:11]
	v_fma_f64 v[4:5], v[12:13], s[28:29], -v[4:5]
	v_fma_f64 v[6:7], v[14:15], s[2:3], v[6:7]
	v_fma_f64 v[12:13], v[12:13], s[2:3], -v[164:165]
	v_mul_f64 v[14:15], v[28:29], s[34:35]
	v_fma_f64 v[164:165], v[26:27], s[4:5], -v[100:101]
	v_fma_f64 v[100:101], v[26:27], s[4:5], v[100:101]
	v_add_f64 v[102:103], v[118:119], v[102:103]
	v_add_f64 v[104:105], v[196:197], v[104:105]
	v_mul_f64 v[118:119], v[22:23], s[38:39]
	v_add_f64 v[108:109], v[194:195], v[108:109]
	v_fma_f64 v[194:195], v[26:27], s[20:21], -v[18:19]
	v_add_f64 v[112:113], v[192:193], v[112:113]
	v_fma_f64 v[192:193], v[24:25], s[4:5], v[198:199]
	v_mul_f64 v[22:23], v[22:23], s[34:35]
	v_fma_f64 v[196:197], v[24:25], s[20:21], v[16:17]
	v_add_f64 v[10:11], v[10:11], v[114:115]
	v_add_f64 v[2:3], v[4:5], v[2:3]
	v_mul_f64 v[4:5], v[20:21], s[34:35]
	v_mul_f64 v[20:21], v[20:21], s[38:39]
	v_fma_f64 v[114:115], v[24:25], s[4:5], -v[198:199]
	v_fma_f64 v[18:19], v[26:27], s[20:21], v[18:19]
	v_add_f64 v[0:1], v[6:7], v[0:1]
	v_fma_f64 v[16:17], v[24:25], s[20:21], -v[16:17]
	v_add_f64 v[8:9], v[12:13], v[8:9]
	v_fma_f64 v[24:25], v[46:47], s[28:29], -v[106:107]
	v_fma_f64 v[26:27], v[46:47], s[28:29], v[106:107]
	v_fma_f64 v[106:107], v[32:33], s[0:1], v[116:117]
	v_mul_f64 v[12:13], v[28:29], s[22:23]
	v_add_f64 v[102:103], v[164:165], v[102:103]
	v_mul_f64 v[164:165], v[34:35], s[30:31]
	v_fma_f64 v[116:117], v[36:37], s[16:17], -v[118:119]
	v_fma_f64 v[118:119], v[36:37], s[16:17], v[118:119]
	v_add_f64 v[104:105], v[194:195], v[104:105]
	v_mul_f64 v[34:35], v[34:35], s[26:27]
	v_add_f64 v[112:113], v[192:193], v[112:113]
	v_fma_f64 v[194:195], v[36:37], s[28:29], -v[22:23]
	v_add_f64 v[108:109], v[196:197], v[108:109]
	v_add_f64 v[10:11], v[100:101], v[10:11]
	v_fma_f64 v[22:23], v[36:37], s[28:29], v[22:23]
	v_fma_f64 v[192:193], v[32:33], s[28:29], v[4:5]
	;; [unrolled: 1-line block ×3, first 2 shown]
	v_add_f64 v[2:3], v[114:115], v[2:3]
	v_mul_f64 v[114:115], v[30:31], s[30:31]
	v_fma_f64 v[20:21], v[32:33], s[16:17], -v[20:21]
	v_add_f64 v[0:1], v[18:19], v[0:1]
	v_mul_f64 v[18:19], v[30:31], s[26:27]
	v_mul_f64 v[30:31], v[30:31], s[18:19]
	v_add_f64 v[8:9], v[16:17], v[8:9]
	v_mul_f64 v[16:17], v[28:29], s[26:27]
	v_fma_f64 v[4:5], v[32:33], s[28:29], -v[4:5]
	v_add_f64 v[84:85], v[106:107], v[84:85]
	v_mul_f64 v[36:37], v[40:41], s[22:23]
	v_add_f64 v[102:103], v[116:117], v[102:103]
	v_mul_f64 v[116:117], v[40:41], s[26:27]
	v_fma_f64 v[6:7], v[42:43], s[28:29], v[14:15]
	v_fma_f64 v[14:15], v[42:43], s[28:29], -v[14:15]
	v_fma_f64 v[32:33], v[42:43], s[2:3], v[12:13]
	v_add_f64 v[104:105], v[194:195], v[104:105]
	v_mul_f64 v[194:195], v[28:29], s[12:13]
	v_add_f64 v[10:11], v[118:119], v[10:11]
	v_fma_f64 v[118:119], v[38:39], s[16:17], -v[34:35]
	v_add_f64 v[108:109], v[192:193], v[108:109]
	v_mul_f64 v[192:193], v[40:41], s[12:13]
	v_add_f64 v[100:101], v[100:101], v[112:113]
	v_fma_f64 v[112:113], v[38:39], s[20:21], -v[164:165]
	v_fma_f64 v[106:107], v[44:45], s[20:21], v[114:115]
	v_add_f64 v[2:3], v[20:21], v[2:3]
	v_fma_f64 v[20:21], v[44:45], s[16:17], v[18:19]
	v_fma_f64 v[164:165], v[38:39], s[20:21], v[164:165]
	;; [unrolled: 1-line block ×4, first 2 shown]
	v_fma_f64 v[30:31], v[44:45], s[2:3], -v[30:31]
	v_add_f64 v[0:1], v[22:23], v[0:1]
	v_fma_f64 v[22:23], v[44:45], s[20:21], -v[114:115]
	v_fma_f64 v[18:19], v[44:45], s[16:17], -v[18:19]
	v_fma_f64 v[44:45], v[42:43], s[16:17], v[16:17]
	v_add_f64 v[4:5], v[4:5], v[8:9]
	v_fma_f64 v[114:115], v[46:47], s[16:17], -v[116:117]
	v_fma_f64 v[8:9], v[42:43], s[16:17], -v[16:17]
	v_add_f64 v[16:17], v[110:111], v[86:87]
	v_fma_f64 v[86:87], v[46:47], s[16:17], v[116:117]
	v_mul_f64 v[28:29], v[28:29], s[24:25]
	v_add_f64 v[104:105], v[118:119], v[104:105]
	v_mul_f64 v[40:41], v[40:41], s[24:25]
	v_fma_f64 v[116:117], v[46:47], s[0:1], v[192:193]
	v_fma_f64 v[118:119], v[46:47], s[0:1], -v[192:193]
	v_add_f64 v[102:103], v[112:113], v[102:103]
	v_fma_f64 v[110:111], v[42:43], s[0:1], -v[194:195]
	v_add_f64 v[100:101], v[106:107], v[100:101]
	v_add_f64 v[20:21], v[20:21], v[108:109]
	v_fma_f64 v[12:13], v[42:43], s[2:3], -v[12:13]
	v_fma_f64 v[196:197], v[46:47], s[2:3], -v[36:37]
	v_add_f64 v[38:39], v[38:39], v[84:85]
	v_fma_f64 v[36:37], v[46:47], s[2:3], v[36:37]
	v_add_f64 v[192:193], v[34:35], v[0:1]
	v_add_f64 v[84:85], v[30:31], v[92:93]
	v_fma_f64 v[92:93], v[42:43], s[0:1], v[194:195]
	v_add_f64 v[34:35], v[44:45], v[98:99]
	s_clause 0x1
	buffer_load_dword v44, off, s[48:51], 0 offset:320
	buffer_load_dword v45, off, s[48:51], 0 offset:324
	v_add_f64 v[106:107], v[164:165], v[10:11]
	v_add_f64 v[164:165], v[22:23], v[2:3]
	;; [unrolled: 1-line block ×4, first 2 shown]
	v_fma_f64 v[112:113], v[42:43], s[4:5], -v[28:29]
	v_fma_f64 v[42:43], v[42:43], s[4:5], v[28:29]
	v_fma_f64 v[108:109], v[46:47], s[4:5], v[40:41]
	v_fma_f64 v[40:41], v[46:47], s[4:5], -v[40:41]
	v_add_f64 v[46:47], v[18:19], v[4:5]
	v_add_f64 v[4:5], v[26:27], v[62:63]
	;; [unrolled: 1-line block ×20, first 2 shown]
	s_waitcnt vmcnt(0)
	v_lshl_add_u32 v44, v45, 4, v44
	ds_write_b128 v44, v[24:27]
	ds_write_b128 v44, v[20:23] offset:16
	ds_write_b128 v44, v[16:19] offset:32
	;; [unrolled: 1-line block ×12, first 2 shown]
.LBB0_13:
	s_or_b32 exec_lo, exec_lo, s33
	s_waitcnt lgkmcnt(0)
	s_barrier
	buffer_gl0_inv
	ds_read_b128 v[0:3], v166 offset:1456
	ds_read_b128 v[4:7], v166 offset:1664
	;; [unrolled: 1-line block ×10, first 2 shown]
	s_clause 0x3
	buffer_load_dword v94, off, s[48:51], 0 offset:428
	buffer_load_dword v95, off, s[48:51], 0 offset:432
	;; [unrolled: 1-line block ×4, first 2 shown]
	ds_read_b128 v[40:43], v166 offset:3744
	ds_read_b128 v[44:47], v166 offset:2496
	s_clause 0x3
	buffer_load_dword v100, off, s[48:51], 0 offset:396
	buffer_load_dword v101, off, s[48:51], 0 offset:400
	;; [unrolled: 1-line block ×4, first 2 shown]
	s_mov_b32 s0, 0xe8584caa
	s_mov_b32 s1, 0xbfebb67a
	;; [unrolled: 1-line block ×8, first 2 shown]
	s_waitcnt lgkmcnt(11)
	v_mul_f64 v[52:53], v[90:91], v[2:3]
	v_mul_f64 v[54:55], v[90:91], v[0:1]
	s_waitcnt lgkmcnt(9)
	v_mul_f64 v[62:63], v[82:83], v[10:11]
	v_mul_f64 v[64:65], v[82:83], v[8:9]
	;; [unrolled: 3-line block ×3, first 2 shown]
	v_mul_f64 v[58:59], v[90:91], v[6:7]
	v_mul_f64 v[60:61], v[90:91], v[4:5]
	s_mov_b32 s5, 0x3fac98ee
	s_mov_b32 s23, 0xbfd5d0dc
	s_mov_b32 s25, 0x3fd5d0dc
	s_mov_b32 s24, s22
	s_mov_b32 s16, 0xaaaaaaaa
	s_mov_b32 s18, 0x5476071b
	s_mov_b32 s17, 0xbff2aaaa
	s_mov_b32 s19, 0x3fe77f67
	s_mov_b32 s21, 0xbfe77f67
	s_mov_b32 s20, s18
	s_mov_b32 s26, 0x37c3f68c
	s_mov_b32 s27, 0xbfdc38aa
	v_fma_f64 v[52:53], v[88:89], v[0:1], v[52:53]
	v_fma_f64 v[54:55], v[88:89], v[2:3], -v[54:55]
	v_fma_f64 v[62:63], v[80:81], v[8:9], v[62:63]
	v_fma_f64 v[64:65], v[80:81], v[10:11], -v[64:65]
	;; [unrolled: 2-line block ×4, first 2 shown]
	s_waitcnt vmcnt(4) lgkmcnt(7)
	v_mul_f64 v[70:71], v[96:97], v[18:19]
	v_mul_f64 v[72:73], v[96:97], v[16:17]
	s_waitcnt vmcnt(0) lgkmcnt(5)
	v_mul_f64 v[74:75], v[102:103], v[26:27]
	v_mul_f64 v[78:79], v[102:103], v[24:25]
	s_clause 0x3
	buffer_load_dword v102, off, s[48:51], 0 offset:460
	buffer_load_dword v103, off, s[48:51], 0 offset:464
	;; [unrolled: 1-line block ×4, first 2 shown]
	ds_read_b128 v[0:3], v166 offset:3952
	s_clause 0x3
	buffer_load_dword v116, off, s[48:51], 0 offset:444
	buffer_load_dword v117, off, s[48:51], 0 offset:448
	;; [unrolled: 1-line block ×4, first 2 shown]
	v_fma_f64 v[70:71], v[94:95], v[16:17], v[70:71]
	v_fma_f64 v[72:73], v[94:95], v[18:19], -v[72:73]
	v_fma_f64 v[74:75], v[100:101], v[24:25], v[74:75]
	v_fma_f64 v[78:79], v[100:101], v[26:27], -v[78:79]
	s_waitcnt vmcnt(4) lgkmcnt(5)
	v_mul_f64 v[82:83], v[104:105], v[30:31]
	v_mul_f64 v[84:85], v[104:105], v[28:29]
	s_clause 0x3
	buffer_load_dword v104, off, s[48:51], 0 offset:412
	buffer_load_dword v105, off, s[48:51], 0 offset:416
	;; [unrolled: 1-line block ×4, first 2 shown]
	ds_read_b128 v[4:7], v166 offset:2704
	s_waitcnt vmcnt(4) lgkmcnt(5)
	v_mul_f64 v[86:87], v[118:119], v[34:35]
	v_mul_f64 v[88:89], v[118:119], v[32:33]
	v_fma_f64 v[82:83], v[102:103], v[28:29], v[82:83]
	v_fma_f64 v[84:85], v[102:103], v[30:31], -v[84:85]
	v_fma_f64 v[86:87], v[116:117], v[32:33], v[86:87]
	v_fma_f64 v[88:89], v[116:117], v[34:35], -v[88:89]
	s_waitcnt vmcnt(0) lgkmcnt(4)
	v_mul_f64 v[90:91], v[106:107], v[38:39]
	v_mul_f64 v[80:81], v[106:107], v[36:37]
	s_clause 0x3
	buffer_load_dword v106, off, s[48:51], 0 offset:380
	buffer_load_dword v107, off, s[48:51], 0 offset:384
	;; [unrolled: 1-line block ×4, first 2 shown]
	v_fma_f64 v[90:91], v[104:105], v[36:37], v[90:91]
	v_fma_f64 v[80:81], v[104:105], v[38:39], -v[80:81]
	v_add_f64 v[104:105], v[52:53], v[62:63]
	s_waitcnt vmcnt(0) lgkmcnt(3)
	v_mul_f64 v[92:93], v[108:109], v[42:43]
	v_mul_f64 v[94:95], v[108:109], v[40:41]
	s_clause 0x3
	buffer_load_dword v108, off, s[48:51], 0 offset:364
	buffer_load_dword v109, off, s[48:51], 0 offset:368
	;; [unrolled: 1-line block ×4, first 2 shown]
	ds_read_b128 v[8:11], v166
	ds_read_b128 v[12:15], v166 offset:208
	ds_read_b128 v[16:19], v166 offset:4160
	s_clause 0x3
	buffer_load_dword v112, off, s[48:51], 0 offset:348
	buffer_load_dword v113, off, s[48:51], 0 offset:352
	;; [unrolled: 1-line block ×4, first 2 shown]
	ds_read_b128 v[24:27], v166 offset:416
	ds_read_b128 v[28:31], v166 offset:624
	;; [unrolled: 1-line block ×4, first 2 shown]
	s_clause 0x3
	buffer_load_dword v116, off, s[48:51], 0 offset:332
	buffer_load_dword v117, off, s[48:51], 0 offset:336
	;; [unrolled: 1-line block ×4, first 2 shown]
	s_waitcnt vmcnt(0) lgkmcnt(0)
	s_barrier
	buffer_gl0_inv
	v_fma_f64 v[92:93], v[106:107], v[40:41], v[92:93]
	v_add_f64 v[40:41], v[54:55], v[64:65]
	v_fma_f64 v[94:95], v[106:107], v[42:43], -v[94:95]
	v_mul_f64 v[98:99], v[110:111], v[44:45]
	v_mul_f64 v[96:97], v[110:111], v[46:47]
	;; [unrolled: 1-line block ×5, first 2 shown]
	v_add_f64 v[114:115], v[72:73], v[78:79]
	v_mul_f64 v[42:43], v[118:119], v[6:7]
	v_mul_f64 v[106:107], v[118:119], v[4:5]
	v_add_f64 v[118:119], v[72:73], -v[78:79]
	v_add_f64 v[72:73], v[26:27], v[72:73]
	v_fma_f64 v[98:99], v[108:109], v[46:47], -v[98:99]
	v_mul_f64 v[46:47], v[142:143], v[18:19]
	v_fma_f64 v[96:97], v[108:109], v[44:45], v[96:97]
	v_add_f64 v[44:45], v[58:59], v[66:67]
	v_add_f64 v[108:109], v[60:61], v[68:69]
	v_fma_f64 v[100:101], v[112:113], v[0:1], v[100:101]
	v_fma_f64 v[102:103], v[112:113], v[2:3], -v[102:103]
	v_add_f64 v[0:1], v[8:9], v[52:53]
	v_add_f64 v[2:3], v[70:71], v[74:75]
	v_add_f64 v[112:113], v[54:55], -v[64:65]
	v_add_f64 v[54:55], v[10:11], v[54:55]
	v_fma_f64 v[8:9], v[104:105], -0.5, v[8:9]
	v_add_f64 v[52:53], v[52:53], -v[62:63]
	v_fma_f64 v[10:11], v[40:41], -0.5, v[10:11]
	v_fma_f64 v[104:105], v[116:117], v[4:5], v[42:43]
	v_fma_f64 v[106:107], v[116:117], v[6:7], -v[106:107]
	v_add_f64 v[40:41], v[12:13], v[58:59]
	v_add_f64 v[42:43], v[60:61], -v[68:69]
	v_add_f64 v[58:59], v[58:59], -v[66:67]
	v_fma_f64 v[116:117], v[140:141], v[16:17], v[46:47]
	v_add_f64 v[46:47], v[14:15], v[60:61]
	v_fma_f64 v[44:45], v[44:45], -0.5, v[12:13]
	v_fma_f64 v[60:61], v[108:109], -0.5, v[14:15]
	v_fma_f64 v[108:109], v[140:141], v[18:19], -v[110:111]
	v_add_f64 v[110:111], v[24:25], v[70:71]
	v_add_f64 v[0:1], v[0:1], v[62:63]
	v_fma_f64 v[140:141], v[2:3], -0.5, v[24:25]
	v_fma_f64 v[62:63], v[114:115], -0.5, v[26:27]
	v_add_f64 v[70:71], v[70:71], -v[74:75]
	v_add_f64 v[2:3], v[54:55], v[64:65]
	v_fma_f64 v[4:5], v[112:113], s[0:1], v[8:9]
	v_fma_f64 v[6:7], v[52:53], s[2:3], v[10:11]
	;; [unrolled: 1-line block ×4, first 2 shown]
	v_add_f64 v[12:13], v[40:41], v[66:67]
	v_add_f64 v[64:65], v[28:29], v[82:83]
	;; [unrolled: 1-line block ×6, first 2 shown]
	v_fma_f64 v[16:17], v[42:43], s[0:1], v[44:45]
	v_fma_f64 v[18:19], v[58:59], s[2:3], v[60:61]
	v_fma_f64 v[24:25], v[42:43], s[2:3], v[44:45]
	v_fma_f64 v[26:27], v[58:59], s[0:1], v[60:61]
	v_add_f64 v[40:41], v[110:111], v[74:75]
	v_add_f64 v[42:43], v[72:73], v[78:79]
	v_fma_f64 v[44:45], v[118:119], s[0:1], v[140:141]
	v_fma_f64 v[46:47], v[70:71], s[2:3], v[62:63]
	;; [unrolled: 1-line block ×4, first 2 shown]
	ds_write_b128 v166, v[0:3]
	ds_write_b128 v166, v[4:7] offset:208
	ds_write_b128 v166, v[8:11] offset:416
	ds_write_b128 v166, v[12:15] offset:624
	ds_write_b128 v166, v[16:19] offset:832
	ds_write_b128 v166, v[24:27] offset:1040
	ds_write_b128 v56, v[40:43] offset:1248
	ds_write_b128 v56, v[44:47] offset:1456
	ds_write_b128 v56, v[52:55] offset:1664
	buffer_load_dword v0, off, s[48:51], 0 offset:508 ; 4-byte Folded Reload
	v_add_f64 v[60:61], v[96:97], v[100:101]
	v_add_f64 v[70:71], v[30:31], v[84:85]
	;; [unrolled: 1-line block ×5, first 2 shown]
	v_fma_f64 v[28:29], v[112:113], -0.5, v[28:29]
	v_add_f64 v[64:65], v[84:85], -v[88:89]
	v_fma_f64 v[30:31], v[66:67], -0.5, v[30:31]
	v_add_f64 v[66:67], v[82:83], -v[86:87]
	v_fma_f64 v[82:83], v[114:115], -0.5, v[32:33]
	v_add_f64 v[114:115], v[20:21], v[104:105]
	v_add_f64 v[140:141], v[106:107], -v[108:109]
	v_add_f64 v[106:107], v[22:23], v[106:107]
	v_add_f64 v[68:69], v[80:81], v[94:95]
	;; [unrolled: 1-line block ×4, first 2 shown]
	v_add_f64 v[84:85], v[80:81], -v[94:95]
	v_add_f64 v[80:81], v[34:35], v[80:81]
	v_add_f64 v[86:87], v[90:91], -v[92:93]
	v_add_f64 v[90:91], v[36:37], v[96:97]
	;; [unrolled: 2-line block ×3, first 2 shown]
	v_fma_f64 v[110:111], v[60:61], -0.5, v[36:37]
	v_add_f64 v[60:61], v[70:71], v[88:89]
	v_fma_f64 v[118:119], v[72:73], -0.5, v[20:21]
	v_add_f64 v[96:97], v[96:97], -v[100:101]
	v_fma_f64 v[142:143], v[62:63], -0.5, v[22:23]
	v_add_f64 v[104:105], v[104:105], -v[116:117]
	v_fma_f64 v[20:21], v[64:65], s[0:1], v[28:29]
	v_fma_f64 v[28:29], v[64:65], s[2:3], v[28:29]
	;; [unrolled: 1-line block ×4, first 2 shown]
	s_waitcnt vmcnt(0)
	ds_write_b128 v0, v[58:61] offset:1872
	ds_write_b128 v0, v[20:23] offset:2080
	;; [unrolled: 1-line block ×3, first 2 shown]
	buffer_load_dword v0, off, s[48:51], 0 offset:500 ; 4-byte Folded Reload
	v_fma_f64 v[68:69], v[68:69], -0.5, v[34:35]
	v_fma_f64 v[74:75], v[74:75], -0.5, v[38:39]
	v_add_f64 v[32:33], v[78:79], v[92:93]
	v_add_f64 v[34:35], v[80:81], v[94:95]
	v_fma_f64 v[36:37], v[84:85], s[0:1], v[82:83]
	v_fma_f64 v[62:63], v[84:85], s[2:3], v[82:83]
	v_add_f64 v[66:67], v[90:91], v[100:101]
	v_fma_f64 v[70:71], v[112:113], s[0:1], v[110:111]
	v_fma_f64 v[78:79], v[112:113], s[2:3], v[110:111]
	v_add_f64 v[82:83], v[114:115], v[116:117]
	v_add_f64 v[84:85], v[106:107], v[108:109]
	v_fma_f64 v[88:89], v[104:105], s[2:3], v[142:143]
	v_fma_f64 v[90:91], v[140:141], s[2:3], v[118:119]
	;; [unrolled: 1-line block ×5, first 2 shown]
	v_add_f64 v[68:69], v[98:99], v[102:103]
	v_fma_f64 v[72:73], v[96:97], s[2:3], v[74:75]
	v_fma_f64 v[80:81], v[96:97], s[0:1], v[74:75]
	;; [unrolled: 1-line block ×3, first 2 shown]
	s_mov_b32 s2, 0x37e14327
	s_mov_b32 s0, 0x429ad128
	;; [unrolled: 1-line block ×4, first 2 shown]
	s_waitcnt vmcnt(0)
	ds_write_b128 v0, v[32:35] offset:2496
	ds_write_b128 v0, v[36:39] offset:2704
	ds_write_b128 v0, v[62:65] offset:2912
	ds_write_b128 v77, v[66:69] offset:3120
	ds_write_b128 v77, v[70:73] offset:3328
	ds_write_b128 v77, v[78:81] offset:3536
	buffer_load_dword v0, off, s[48:51], 0 offset:492 ; 4-byte Folded Reload
	s_waitcnt vmcnt(0)
	ds_write_b128 v0, v[82:85] offset:3744
	ds_write_b128 v0, v[86:89] offset:3952
	;; [unrolled: 1-line block ×3, first 2 shown]
	s_waitcnt lgkmcnt(0)
	s_barrier
	buffer_gl0_inv
	ds_read_b128 v[4:7], v166 offset:624
	ds_read_b128 v[8:11], v166 offset:1248
	;; [unrolled: 1-line block ×13, first 2 shown]
	s_clause 0x3
	buffer_load_dword v98, off, s[48:51], 0 offset:476
	buffer_load_dword v99, off, s[48:51], 0 offset:480
	;; [unrolled: 1-line block ×4, first 2 shown]
	s_waitcnt lgkmcnt(12)
	v_mul_f64 v[58:59], v[130:131], v[6:7]
	v_mul_f64 v[60:61], v[130:131], v[4:5]
	s_waitcnt lgkmcnt(11)
	v_mul_f64 v[62:63], v[126:127], v[10:11]
	v_mul_f64 v[64:65], v[126:127], v[8:9]
	s_waitcnt lgkmcnt(10)
	v_mul_f64 v[66:67], v[134:135], v[14:15]
	s_waitcnt lgkmcnt(9)
	v_mul_f64 v[68:69], v[138:139], v[18:19]
	v_mul_f64 v[70:71], v[138:139], v[16:17]
	;; [unrolled: 1-line block ×3, first 2 shown]
	s_waitcnt lgkmcnt(8)
	v_mul_f64 v[82:83], v[122:123], v[22:23]
	v_mul_f64 v[84:85], v[122:123], v[20:21]
	s_waitcnt lgkmcnt(2)
	v_mul_f64 v[90:91], v[186:187], v[42:43]
	v_mul_f64 v[92:93], v[186:187], v[40:41]
	;; [unrolled: 1-line block ×6, first 2 shown]
	s_waitcnt lgkmcnt(0)
	v_mul_f64 v[126:127], v[170:171], v[52:53]
	v_fma_f64 v[74:75], v[128:129], v[4:5], v[58:59]
	v_fma_f64 v[76:77], v[128:129], v[6:7], -v[60:61]
	v_fma_f64 v[78:79], v[124:125], v[8:9], v[62:63]
	v_fma_f64 v[80:81], v[124:125], v[10:11], -v[64:65]
	v_fma_f64 v[66:67], v[132:133], v[12:13], v[66:67]
	v_fma_f64 v[68:69], v[136:137], v[16:17], v[68:69]
	v_fma_f64 v[70:71], v[136:137], v[18:19], -v[70:71]
	v_fma_f64 v[72:73], v[132:133], v[14:15], -v[72:73]
	ds_read_b128 v[4:7], v166 offset:2080
	ds_read_b128 v[8:11], v166 offset:1040
	ds_read_b128 v[12:15], v166
	ds_read_b128 v[16:19], v166 offset:208
	ds_read_b128 v[58:61], v166 offset:3328
	;; [unrolled: 1-line block ×3, first 2 shown]
	v_fma_f64 v[82:83], v[120:121], v[20:21], v[82:83]
	v_fma_f64 v[84:85], v[120:121], v[22:23], -v[84:85]
	v_fma_f64 v[40:41], v[184:185], v[40:41], v[90:91]
	v_fma_f64 v[42:43], v[184:185], v[42:43], -v[92:93]
	v_mul_f64 v[90:91], v[50:51], v[46:47]
	v_mul_f64 v[50:51], v[50:51], v[44:45]
	v_fma_f64 v[24:25], v[160:161], v[24:25], v[102:103]
	v_fma_f64 v[26:27], v[160:161], v[26:27], -v[104:105]
	v_fma_f64 v[28:29], v[176:177], v[28:29], v[112:113]
	v_mul_f64 v[120:121], v[170:171], v[54:55]
	v_fma_f64 v[30:31], v[176:177], v[30:31], -v[114:115]
	v_fma_f64 v[54:55], v[168:169], v[54:55], -v[126:127]
	v_add_f64 v[96:97], v[78:79], v[66:67]
	v_add_f64 v[94:95], v[74:75], v[68:69]
	s_waitcnt lgkmcnt(5)
	v_mul_f64 v[106:107], v[174:175], v[6:7]
	v_mul_f64 v[108:109], v[174:175], v[4:5]
	s_waitcnt lgkmcnt(1)
	v_mul_f64 v[92:93], v[182:183], v[60:61]
	v_mul_f64 v[110:111], v[182:183], v[58:59]
	;; [unrolled: 1-line block ×4, first 2 shown]
	v_fma_f64 v[44:45], v[48:49], v[44:45], v[90:91]
	v_fma_f64 v[46:47], v[48:49], v[46:47], -v[50:51]
	v_fma_f64 v[52:53], v[168:169], v[52:53], v[120:121]
	v_add_f64 v[124:125], v[96:97], v[94:95]
	v_fma_f64 v[102:103], v[172:173], v[4:5], v[106:107]
	v_add_f64 v[4:5], v[78:79], -v[66:67]
	v_fma_f64 v[78:79], v[172:173], v[6:7], -v[108:109]
	v_add_f64 v[6:7], v[80:81], -v[72:73]
	v_fma_f64 v[48:49], v[180:181], v[58:59], v[92:93]
	v_fma_f64 v[50:51], v[180:181], v[60:61], -v[110:111]
	v_add_f64 v[58:59], v[76:77], -v[70:71]
	v_add_f64 v[60:61], v[74:75], -v[68:69]
	v_fma_f64 v[68:69], v[188:189], v[8:9], v[116:117]
	v_add_f64 v[110:111], v[6:7], -v[58:59]
	v_add_f64 v[112:113], v[4:5], -v[60:61]
	s_waitcnt vmcnt(0)
	v_mul_f64 v[86:87], v[100:101], v[38:39]
	v_mul_f64 v[88:89], v[100:101], v[36:37]
	v_add_f64 v[100:101], v[80:81], v[72:73]
	s_waitcnt lgkmcnt(0)
	v_mul_f64 v[80:81], v[150:151], v[64:65]
	v_fma_f64 v[86:87], v[98:99], v[36:37], v[86:87]
	v_fma_f64 v[88:89], v[98:99], v[38:39], -v[88:89]
	v_add_f64 v[98:99], v[76:77], v[70:71]
	v_fma_f64 v[70:71], v[188:189], v[10:11], -v[118:119]
	ds_read_b128 v[20:23], v166 offset:3536
	ds_read_b128 v[36:39], v166 offset:4160
	v_add_f64 v[122:123], v[82:83], v[86:87]
	v_add_f64 v[128:129], v[84:85], v[88:89]
	;; [unrolled: 1-line block ×3, first 2 shown]
	v_add_f64 v[66:67], v[86:87], -v[82:83]
	v_add_f64 v[72:73], v[88:89], -v[84:85]
	s_waitcnt lgkmcnt(1)
	v_mul_f64 v[106:107], v[158:159], v[22:23]
	v_mul_f64 v[108:109], v[158:159], v[20:21]
	;; [unrolled: 1-line block ×5, first 2 shown]
	v_fma_f64 v[62:63], v[148:149], v[62:63], v[80:81]
	v_add_f64 v[8:9], v[122:123], v[124:125]
	v_add_f64 v[74:75], v[94:95], -v[122:123]
	v_add_f64 v[10:11], v[128:129], v[130:131]
	v_add_f64 v[76:77], v[98:99], -v[128:129]
	v_add_f64 v[84:85], v[66:67], v[4:5]
	v_add_f64 v[90:91], v[72:73], v[6:7]
	v_add_f64 v[92:93], v[72:73], -v[6:7]
	v_add_f64 v[104:105], v[66:67], -v[4:5]
	;; [unrolled: 1-line block ×8, first 2 shown]
	v_fma_f64 v[106:107], v[156:157], v[20:21], v[106:107]
	v_fma_f64 v[108:109], v[156:157], v[22:23], -v[108:109]
	v_fma_f64 v[64:65], v[148:149], v[64:65], -v[82:83]
	v_fma_f64 v[32:33], v[144:145], v[32:33], v[86:87]
	v_fma_f64 v[34:35], v[144:145], v[34:35], -v[88:89]
	v_add_f64 v[4:5], v[12:13], v[8:9]
	v_mul_f64 v[12:13], v[74:75], s[2:3]
	v_add_f64 v[6:7], v[14:15], v[10:11]
	v_mul_f64 v[14:15], v[76:77], s[2:3]
	v_add_f64 v[60:61], v[84:85], v[60:61]
	v_add_f64 v[58:59], v[90:91], v[58:59]
	v_mul_f64 v[74:75], v[92:93], s[12:13]
	v_mul_f64 v[76:77], v[104:105], s[12:13]
	;; [unrolled: 1-line block ×6, first 2 shown]
	v_add_f64 v[80:81], v[54:55], v[108:109]
	v_add_f64 v[54:55], v[54:55], -v[108:109]
	v_fma_f64 v[8:9], v[8:9], s[16:17], v[4:5]
	v_fma_f64 v[96:97], v[96:97], s[4:5], v[12:13]
	;; [unrolled: 1-line block ×4, first 2 shown]
	v_fma_f64 v[12:13], v[94:95], s[20:21], -v[12:13]
	v_fma_f64 v[14:15], v[98:99], s[20:21], -v[14:15]
	v_fma_f64 v[114:115], v[72:73], s[22:23], v[74:75]
	v_fma_f64 v[116:117], v[66:67], s[22:23], v[76:77]
	v_fma_f64 v[72:73], v[72:73], s[24:25], -v[84:85]
	v_fma_f64 v[66:67], v[66:67], s[24:25], -v[90:91]
	s_waitcnt lgkmcnt(0)
	v_mul_f64 v[84:85], v[154:155], v[38:39]
	v_mul_f64 v[90:91], v[154:155], v[36:37]
	v_fma_f64 v[92:93], v[94:95], s[18:19], -v[92:93]
	v_fma_f64 v[94:95], v[98:99], s[18:19], -v[104:105]
	;; [unrolled: 1-line block ×4, first 2 shown]
	v_add_f64 v[98:99], v[40:41], v[28:29]
	v_add_f64 v[104:105], v[42:43], v[30:31]
	;; [unrolled: 1-line block ×4, first 2 shown]
	v_add_f64 v[48:49], v[24:25], -v[48:49]
	v_add_f64 v[50:51], v[26:27], -v[50:51]
	v_add_f64 v[28:29], v[40:41], -v[28:29]
	v_add_f64 v[30:31], v[42:43], -v[30:31]
	v_add_f64 v[96:97], v[96:97], v[8:9]
	v_add_f64 v[100:101], v[100:101], v[10:11]
	;; [unrolled: 1-line block ×4, first 2 shown]
	v_fma_f64 v[114:115], v[58:59], s[26:27], v[114:115]
	v_fma_f64 v[116:117], v[60:61], s[26:27], v[116:117]
	;; [unrolled: 1-line block ×5, first 2 shown]
	v_fma_f64 v[38:39], v[152:153], v[38:39], -v[90:91]
	v_add_f64 v[84:85], v[92:93], v[8:9]
	v_add_f64 v[90:91], v[94:95], v[10:11]
	v_fma_f64 v[60:61], v[60:61], s[26:27], v[76:77]
	v_fma_f64 v[58:59], v[58:59], s[26:27], v[74:75]
	v_add_f64 v[74:75], v[102:103], v[44:45]
	v_add_f64 v[76:77], v[78:79], v[46:47]
	;; [unrolled: 1-line block ×4, first 2 shown]
	v_add_f64 v[44:45], v[44:45], -v[102:103]
	v_add_f64 v[46:47], v[46:47], -v[78:79]
	v_add_f64 v[78:79], v[52:53], v[106:107]
	v_add_f64 v[102:103], v[62:63], v[32:33]
	v_add_f64 v[52:53], v[52:53], -v[106:107]
	v_add_f64 v[32:33], v[32:33], -v[62:63]
	v_add_f64 v[8:9], v[114:115], v[96:97]
	v_add_f64 v[10:11], v[100:101], -v[116:117]
	v_add_f64 v[12:13], v[72:73], v[118:119]
	;; [unrolled: 2-line block ×3, first 2 shown]
	v_add_f64 v[42:43], v[70:71], v[38:39]
	v_add_f64 v[38:39], v[70:71], -v[38:39]
	v_add_f64 v[36:37], v[68:69], -v[36:37]
	v_add_f64 v[22:23], v[60:61], v[90:91]
	v_add_f64 v[20:21], v[84:85], -v[58:59]
	v_add_f64 v[24:25], v[58:59], v[84:85]
	;; [unrolled: 2-line block ×3, first 2 shown]
	v_add_f64 v[86:87], v[76:77], v[94:95]
	v_add_f64 v[58:59], v[110:111], -v[98:99]
	v_add_f64 v[60:61], v[112:113], -v[104:105]
	;; [unrolled: 1-line block ×8, first 2 shown]
	v_add_f64 v[104:105], v[64:65], v[34:35]
	v_add_f64 v[34:35], v[34:35], -v[64:65]
	v_add_f64 v[90:91], v[44:45], v[48:49]
	v_add_f64 v[92:93], v[46:47], v[50:51]
	;; [unrolled: 1-line block ×4, first 2 shown]
	v_add_f64 v[48:49], v[48:49], -v[28:29]
	v_add_f64 v[50:51], v[50:51], -v[30:31]
	v_add_f64 v[106:107], v[40:41], -v[102:103]
	v_add_f64 v[122:123], v[54:55], -v[38:39]
	v_add_f64 v[124:125], v[52:53], -v[36:37]
	v_add_f64 v[44:45], v[28:29], -v[44:45]
	v_add_f64 v[46:47], v[30:31], -v[46:47]
	v_add_f64 v[16:17], v[16:17], v[82:83]
	v_add_f64 v[18:19], v[18:19], v[86:87]
	v_add_f64 v[40:41], v[78:79], -v[40:41]
	v_mul_f64 v[62:63], v[84:85], s[2:3]
	v_mul_f64 v[64:65], v[88:89], s[2:3]
	;; [unrolled: 1-line block ×6, first 2 shown]
	v_add_f64 v[108:109], v[42:43], -v[104:105]
	v_add_f64 v[42:43], v[80:81], -v[42:43]
	v_add_f64 v[28:29], v[90:91], v[28:29]
	v_add_f64 v[30:31], v[92:93], v[30:31]
	;; [unrolled: 1-line block ×4, first 2 shown]
	v_add_f64 v[102:103], v[102:103], -v[78:79]
	v_add_f64 v[104:105], v[104:105], -v[80:81]
	;; [unrolled: 1-line block ×4, first 2 shown]
	v_mul_f64 v[90:91], v[48:49], s[0:1]
	v_mul_f64 v[92:93], v[50:51], s[0:1]
	v_add_f64 v[52:53], v[32:33], v[52:53]
	v_add_f64 v[54:55], v[34:35], v[54:55]
	v_add_f64 v[32:33], v[36:37], -v[32:33]
	v_add_f64 v[34:35], v[38:39], -v[34:35]
	v_fma_f64 v[74:75], v[74:75], s[4:5], v[62:63]
	v_fma_f64 v[76:77], v[76:77], s[4:5], v[64:65]
	v_fma_f64 v[68:69], v[58:59], s[18:19], -v[68:69]
	v_fma_f64 v[70:71], v[60:61], s[18:19], -v[70:71]
	;; [unrolled: 1-line block ×4, first 2 shown]
	v_mul_f64 v[62:63], v[106:107], s[2:3]
	v_mul_f64 v[64:65], v[108:109], s[2:3]
	v_fma_f64 v[82:83], v[82:83], s[16:17], v[16:17]
	v_fma_f64 v[86:87], v[86:87], s[16:17], v[18:19]
	v_add_f64 v[0:1], v[0:1], v[94:95]
	v_add_f64 v[2:3], v[2:3], v[98:99]
	v_mul_f64 v[78:79], v[102:103], s[4:5]
	v_mul_f64 v[80:81], v[104:105], s[4:5]
	;; [unrolled: 1-line block ×6, first 2 shown]
	v_fma_f64 v[126:127], v[44:45], s[22:23], v[84:85]
	v_fma_f64 v[128:129], v[46:47], s[22:23], v[88:89]
	v_fma_f64 v[44:45], v[44:45], s[24:25], -v[90:91]
	v_fma_f64 v[46:47], v[46:47], s[24:25], -v[92:93]
	;; [unrolled: 1-line block ×4, first 2 shown]
	v_add_f64 v[36:37], v[52:53], v[36:37]
	v_add_f64 v[38:39], v[54:55], v[38:39]
	s_mov_b32 s2, 0x1e01e01e
	s_mov_b32 s3, 0x3f6e01e0
	v_fma_f64 v[84:85], v[102:103], s[4:5], v[62:63]
	v_fma_f64 v[88:89], v[104:105], s[4:5], v[64:65]
	v_add_f64 v[74:75], v[74:75], v[82:83]
	v_add_f64 v[76:77], v[76:77], v[86:87]
	v_fma_f64 v[52:53], v[94:95], s[16:17], v[0:1]
	v_fma_f64 v[54:55], v[98:99], s[16:17], v[2:3]
	v_fma_f64 v[78:79], v[40:41], s[18:19], -v[78:79]
	v_fma_f64 v[80:81], v[42:43], s[18:19], -v[80:81]
	;; [unrolled: 1-line block ×4, first 2 shown]
	v_fma_f64 v[62:63], v[34:35], s[22:23], v[106:107]
	v_fma_f64 v[64:65], v[32:33], s[22:23], v[108:109]
	v_fma_f64 v[34:35], v[34:35], s[24:25], -v[110:111]
	v_fma_f64 v[32:33], v[32:33], s[24:25], -v[112:113]
	;; [unrolled: 1-line block ×4, first 2 shown]
	v_add_f64 v[68:69], v[68:69], v[82:83]
	v_add_f64 v[70:71], v[70:71], v[86:87]
	;; [unrolled: 1-line block ×4, first 2 shown]
	v_fma_f64 v[82:83], v[30:31], s[26:27], v[128:129]
	v_fma_f64 v[86:87], v[28:29], s[26:27], v[126:127]
	;; [unrolled: 1-line block ×6, first 2 shown]
	v_add_f64 v[84:85], v[84:85], v[52:53]
	v_add_f64 v[88:89], v[88:89], v[54:55]
	;; [unrolled: 1-line block ×6, first 2 shown]
	v_fma_f64 v[108:109], v[38:39], s[26:27], v[62:63]
	v_fma_f64 v[110:111], v[36:37], s[26:27], v[64:65]
	;; [unrolled: 1-line block ×6, first 2 shown]
	v_add_f64 v[28:29], v[118:119], -v[72:73]
	v_add_f64 v[30:31], v[66:67], v[120:121]
	v_add_f64 v[32:33], v[96:97], -v[114:115]
	v_add_f64 v[34:35], v[116:117], v[100:101]
	v_add_f64 v[36:37], v[82:83], v[74:75]
	v_add_f64 v[38:39], v[76:77], -v[86:87]
	v_add_f64 v[40:41], v[94:95], v[58:59]
	v_add_f64 v[42:43], v[60:61], -v[98:99]
	v_add_f64 v[44:45], v[68:69], -v[50:51]
	v_add_f64 v[46:47], v[102:103], v[70:71]
	v_add_f64 v[48:49], v[50:51], v[68:69]
	v_add_f64 v[50:51], v[70:71], -v[102:103]
	v_add_f64 v[52:53], v[58:59], -v[94:95]
	v_add_f64 v[54:55], v[98:99], v[60:61]
	v_add_f64 v[58:59], v[74:75], -v[82:83]
	v_add_f64 v[60:61], v[86:87], v[76:77]
	v_add_f64 v[62:63], v[108:109], v[84:85]
	v_add_f64 v[64:65], v[88:89], -v[110:111]
	v_add_f64 v[66:67], v[112:113], v[104:105]
	v_add_f64 v[68:69], v[106:107], -v[122:123]
	v_add_f64 v[70:71], v[78:79], -v[90:91]
	v_add_f64 v[72:73], v[92:93], v[80:81]
	v_add_f64 v[74:75], v[90:91], v[78:79]
	v_add_f64 v[76:77], v[80:81], -v[92:93]
	v_add_f64 v[78:79], v[104:105], -v[112:113]
	v_add_f64 v[80:81], v[122:123], v[106:107]
	v_add_f64 v[82:83], v[84:85], -v[108:109]
	v_add_f64 v[84:85], v[110:111], v[88:89]
	ds_write_b128 v166, v[4:7]
	ds_write_b128 v166, v[8:11] offset:624
	ds_write_b128 v166, v[12:15] offset:1248
	;; [unrolled: 1-line block ×20, first 2 shown]
	s_waitcnt lgkmcnt(0)
	s_barrier
	buffer_gl0_inv
	ds_read_b128 v[0:3], v166
	ds_read_b128 v[4:7], v166 offset:336
	ds_read_b128 v[8:11], v166 offset:672
	s_clause 0x5
	buffer_load_dword v32, off, s[48:51], 0 offset:176
	buffer_load_dword v33, off, s[48:51], 0 offset:180
	;; [unrolled: 1-line block ×6, first 2 shown]
	s_mul_hi_u32 s1, s8, 21
	s_mul_i32 s4, s8, 21
	s_waitcnt vmcnt(2) lgkmcnt(2)
	v_mul_f64 v[16:17], v[34:35], v[2:3]
	v_mul_f64 v[18:19], v[34:35], v[0:1]
	s_clause 0x3
	buffer_load_dword v34, off, s[48:51], 0 offset:256
	buffer_load_dword v35, off, s[48:51], 0 offset:260
	;; [unrolled: 1-line block ×4, first 2 shown]
	s_waitcnt vmcnt(5)
	v_mov_b32_e32 v30, v12
	s_waitcnt vmcnt(4)
	ds_read_b128 v[12:15], v166 offset:1008
	v_mad_u64_u32 v[20:21], null, s10, v30, 0
	v_fma_f64 v[0:1], v[32:33], v[0:1], v[16:17]
	v_fma_f64 v[2:3], v[32:33], v[2:3], -v[18:19]
	s_waitcnt vmcnt(0) lgkmcnt(2)
	v_mul_f64 v[22:23], v[36:37], v[6:7]
	v_mul_f64 v[24:25], v[36:37], v[4:5]
	s_clause 0x3
	buffer_load_dword v36, off, s[48:51], 0 offset:272
	buffer_load_dword v37, off, s[48:51], 0 offset:276
	;; [unrolled: 1-line block ×4, first 2 shown]
	v_mad_u64_u32 v[30:31], null, s11, v30, v[21:22]
	buffer_load_dword v31, off, s[48:51], 0 ; 4-byte Folded Reload
	v_fma_f64 v[22:23], v[34:35], v[4:5], v[22:23]
	v_fma_f64 v[24:25], v[34:35], v[6:7], -v[24:25]
	ds_read_b128 v[4:7], v166 offset:1344
	v_mov_b32_e32 v21, v30
	s_waitcnt vmcnt(1) lgkmcnt(2)
	v_mul_f64 v[26:27], v[38:39], v[10:11]
	v_mul_f64 v[28:29], v[38:39], v[8:9]
	s_clause 0x3
	buffer_load_dword v38, off, s[48:51], 0 offset:240
	buffer_load_dword v39, off, s[48:51], 0 offset:244
	;; [unrolled: 1-line block ×4, first 2 shown]
	s_waitcnt vmcnt(4)
	v_mad_u64_u32 v[16:17], null, s8, v31, 0
	v_fma_f64 v[28:29], v[36:37], v[10:11], -v[28:29]
	v_mul_f64 v[10:11], v[2:3], s[2:3]
	v_fma_f64 v[26:27], v[36:37], v[8:9], v[26:27]
	v_mul_f64 v[8:9], v[0:1], s[2:3]
	v_mad_u64_u32 v[17:18], null, s9, v31, v[17:18]
	v_lshlrev_b64 v[18:19], 4, v[20:21]
	v_mul_f64 v[20:21], v[22:23], s[2:3]
	v_mul_f64 v[22:23], v[24:25], s[2:3]
	v_add_co_u32 v2, s0, s14, v18
	v_add_co_ci_u32_e64 v3, s0, s15, v19, s0
	v_lshlrev_b64 v[0:1], 4, v[16:17]
	ds_read_b128 v[16:19], v166 offset:1680
	s_mul_i32 s0, s9, 21
	s_add_i32 s5, s1, s0
	v_mul_f64 v[24:25], v[26:27], s[2:3]
	v_mul_f64 v[26:27], v[28:29], s[2:3]
	v_add_co_u32 v0, s0, v2, v0
	v_add_co_ci_u32_e64 v1, s0, v3, v1, s0
	s_lshl_b64 s[4:5], s[4:5], 4
	s_waitcnt vmcnt(0) lgkmcnt(2)
	v_mul_f64 v[30:31], v[40:41], v[14:15]
	v_mul_f64 v[32:33], v[40:41], v[12:13]
	s_clause 0x3
	buffer_load_dword v40, off, s[48:51], 0 offset:224
	buffer_load_dword v41, off, s[48:51], 0 offset:228
	buffer_load_dword v42, off, s[48:51], 0 offset:232
	buffer_load_dword v43, off, s[48:51], 0 offset:236
	v_fma_f64 v[28:29], v[38:39], v[12:13], v[30:31]
	v_fma_f64 v[30:31], v[38:39], v[14:15], -v[32:33]
	ds_read_b128 v[12:15], v166 offset:2016
	s_clause 0x3
	buffer_load_dword v54, off, s[48:51], 0 offset:104
	buffer_load_dword v55, off, s[48:51], 0 offset:108
	;; [unrolled: 1-line block ×4, first 2 shown]
	v_add_co_u32 v32, s0, v0, s4
	v_add_co_ci_u32_e64 v33, s0, s5, v1, s0
	global_store_dwordx4 v[0:1], v[8:11], off
	v_mul_f64 v[8:9], v[28:29], s[2:3]
	v_mul_f64 v[10:11], v[30:31], s[2:3]
	s_waitcnt vmcnt(4) lgkmcnt(2)
	v_mul_f64 v[34:35], v[42:43], v[6:7]
	v_mul_f64 v[36:37], v[42:43], v[4:5]
	v_fma_f64 v[38:39], v[40:41], v[4:5], v[34:35]
	v_add_co_u32 v34, s0, v32, s4
	v_add_co_ci_u32_e64 v35, s0, s5, v33, s0
	v_fma_f64 v[44:45], v[40:41], v[6:7], -v[36:37]
	v_add_co_u32 v52, s0, v34, s4
	ds_read_b128 v[4:7], v166 offset:2352
	global_store_dwordx4 v[32:33], v[20:23], off
	global_store_dwordx4 v[34:35], v[24:27], off
	s_clause 0x3
	buffer_load_dword v58, off, s[48:51], 0 offset:120
	buffer_load_dword v59, off, s[48:51], 0 offset:124
	;; [unrolled: 1-line block ×4, first 2 shown]
	ds_read_b128 v[20:23], v166 offset:2688
	ds_read_b128 v[24:27], v166 offset:3024
	;; [unrolled: 1-line block ×3, first 2 shown]
	v_add_co_ci_u32_e64 v53, s0, s5, v35, s0
	ds_read_b128 v[32:35], v166 offset:3696
	ds_read_b128 v[40:43], v166 offset:4032
	s_clause 0x3
	buffer_load_dword v70, off, s[48:51], 0 offset:144
	buffer_load_dword v71, off, s[48:51], 0 offset:148
	;; [unrolled: 1-line block ×4, first 2 shown]
	s_waitcnt vmcnt(8) lgkmcnt(7)
	v_mul_f64 v[46:47], v[56:57], v[18:19]
	v_mul_f64 v[48:49], v[56:57], v[16:17]
	;; [unrolled: 1-line block ×4, first 2 shown]
	v_fma_f64 v[16:17], v[54:55], v[16:17], v[46:47]
	v_fma_f64 v[18:19], v[54:55], v[18:19], -v[48:49]
	v_add_co_u32 v48, s0, v52, s4
	v_add_co_ci_u32_e64 v49, s0, s5, v53, s0
	s_waitcnt vmcnt(4) lgkmcnt(6)
	v_mul_f64 v[0:1], v[60:61], v[14:15]
	v_mul_f64 v[50:51], v[60:61], v[12:13]
	s_waitcnt vmcnt(0) lgkmcnt(5)
	v_mul_f64 v[44:45], v[72:73], v[6:7]
	v_mul_f64 v[46:47], v[72:73], v[4:5]
	s_clause 0x3
	buffer_load_dword v72, off, s[48:51], 0 offset:160
	buffer_load_dword v73, off, s[48:51], 0 offset:164
	;; [unrolled: 1-line block ×4, first 2 shown]
	v_fma_f64 v[0:1], v[58:59], v[12:13], v[0:1]
	v_fma_f64 v[12:13], v[58:59], v[14:15], -v[50:51]
	s_waitcnt vmcnt(0) lgkmcnt(4)
	v_mul_f64 v[54:55], v[74:75], v[22:23]
	v_mul_f64 v[56:57], v[74:75], v[20:21]
	s_clause 0x3
	buffer_load_dword v74, off, s[48:51], 0 offset:192
	buffer_load_dword v75, off, s[48:51], 0 offset:196
	;; [unrolled: 1-line block ×4, first 2 shown]
	v_fma_f64 v[20:21], v[72:73], v[20:21], v[54:55]
	v_fma_f64 v[22:23], v[72:73], v[22:23], -v[56:57]
	s_waitcnt vmcnt(0) lgkmcnt(3)
	v_mul_f64 v[14:15], v[76:77], v[26:27]
	v_mul_f64 v[50:51], v[76:77], v[24:25]
	s_clause 0x3
	buffer_load_dword v76, off, s[48:51], 0 offset:208
	buffer_load_dword v77, off, s[48:51], 0 offset:212
	buffer_load_dword v78, off, s[48:51], 0 offset:216
	buffer_load_dword v79, off, s[48:51], 0 offset:220
	s_waitcnt vmcnt(0) lgkmcnt(2)
	v_mul_f64 v[58:59], v[78:79], v[30:31]
	v_mul_f64 v[60:61], v[78:79], v[28:29]
	s_clause 0x3
	buffer_load_dword v78, off, s[48:51], 0 offset:288
	buffer_load_dword v79, off, s[48:51], 0 offset:292
	buffer_load_dword v80, off, s[48:51], 0 offset:296
	buffer_load_dword v81, off, s[48:51], 0 offset:300
	s_waitcnt vmcnt(0) lgkmcnt(1)
	v_mul_f64 v[62:63], v[80:81], v[34:35]
	v_mul_f64 v[64:65], v[80:81], v[32:33]
	s_clause 0x3
	buffer_load_dword v80, off, s[48:51], 0 offset:304
	buffer_load_dword v81, off, s[48:51], 0 offset:308
	buffer_load_dword v82, off, s[48:51], 0 offset:312
	buffer_load_dword v83, off, s[48:51], 0 offset:316
	global_store_dwordx4 v[52:53], v[8:11], off
	global_store_dwordx4 v[48:49], v[36:39], off
	v_mul_f64 v[8:9], v[16:17], s[2:3]
	v_mul_f64 v[10:11], v[18:19], s[2:3]
	v_fma_f64 v[16:17], v[70:71], v[4:5], v[44:45]
	v_fma_f64 v[18:19], v[70:71], v[6:7], -v[46:47]
	v_mul_f64 v[4:5], v[0:1], s[2:3]
	v_fma_f64 v[0:1], v[74:75], v[24:25], v[14:15]
	v_fma_f64 v[24:25], v[74:75], v[26:27], -v[50:51]
	v_fma_f64 v[26:27], v[76:77], v[28:29], v[58:59]
	v_fma_f64 v[28:29], v[76:77], v[30:31], -v[60:61]
	v_add_co_u32 v36, s0, v48, s4
	v_add_co_ci_u32_e64 v37, s0, s5, v49, s0
	v_mul_f64 v[6:7], v[12:13], s[2:3]
	v_fma_f64 v[30:31], v[78:79], v[32:33], v[62:63]
	v_fma_f64 v[32:33], v[78:79], v[34:35], -v[64:65]
	global_store_dwordx4 v[36:37], v[8:11], off
	v_mul_f64 v[12:13], v[16:17], s[2:3]
	v_mul_f64 v[14:15], v[18:19], s[2:3]
	;; [unrolled: 1-line block ×10, first 2 shown]
	s_waitcnt vmcnt(0) lgkmcnt(0)
	v_mul_f64 v[66:67], v[82:83], v[42:43]
	v_mul_f64 v[68:69], v[82:83], v[40:41]
	v_fma_f64 v[34:35], v[80:81], v[40:41], v[66:67]
	v_fma_f64 v[38:39], v[80:81], v[42:43], -v[68:69]
	v_add_co_u32 v40, s0, v36, s4
	v_add_co_ci_u32_e64 v41, s0, s5, v37, s0
	v_add_co_u32 v42, s0, v40, s4
	v_add_co_ci_u32_e64 v43, s0, s5, v41, s0
	global_store_dwordx4 v[40:41], v[4:7], off
	v_add_co_u32 v44, s0, v42, s4
	v_add_co_ci_u32_e64 v45, s0, s5, v43, s0
	global_store_dwordx4 v[42:43], v[12:15], off
	v_mul_f64 v[32:33], v[34:35], s[2:3]
	v_mul_f64 v[34:35], v[38:39], s[2:3]
	v_add_co_u32 v38, s0, v44, s4
	v_add_co_ci_u32_e64 v39, s0, s5, v45, s0
	v_add_co_u32 v8, s0, v38, s4
	v_add_co_ci_u32_e64 v9, s0, s5, v39, s0
	;; [unrolled: 2-line block ×4, first 2 shown]
	global_store_dwordx4 v[44:45], v[16:19], off
	global_store_dwordx4 v[38:39], v[20:23], off
	;; [unrolled: 1-line block ×5, first 2 shown]
	s_and_b32 exec_lo, exec_lo, vcc_lo
	s_cbranch_execz .LBB0_15
; %bb.14:
	s_clause 0x1
	buffer_load_dword v18, off, s[48:51], 0 offset:88
	buffer_load_dword v19, off, s[48:51], 0 offset:92
	v_mad_u64_u32 v[0:1], null, 0xfffff110, s8, v[0:1]
	s_mul_i32 s0, s9, 0xfffff110
	s_sub_i32 s0, s0, s8
	v_add_nc_u32_e32 v1, s0, v1
	s_waitcnt vmcnt(0)
	global_load_dwordx4 v[4:7], v[18:19], off offset:208
	ds_read_b128 v[8:11], v166 offset:208
	ds_read_b128 v[12:15], v166 offset:544
	s_waitcnt vmcnt(0) lgkmcnt(1)
	v_mul_f64 v[16:17], v[10:11], v[6:7]
	v_mul_f64 v[6:7], v[8:9], v[6:7]
	v_fma_f64 v[8:9], v[8:9], v[4:5], v[16:17]
	v_fma_f64 v[6:7], v[4:5], v[10:11], -v[6:7]
	v_mul_f64 v[4:5], v[8:9], s[2:3]
	v_mul_f64 v[6:7], v[6:7], s[2:3]
	global_store_dwordx4 v[0:1], v[4:7], off
	global_load_dwordx4 v[4:7], v[18:19], off offset:544
	v_add_co_u32 v0, vcc_lo, v0, s4
	v_add_co_ci_u32_e32 v1, vcc_lo, s5, v1, vcc_lo
	s_waitcnt vmcnt(0) lgkmcnt(0)
	v_mul_f64 v[8:9], v[14:15], v[6:7]
	v_mul_f64 v[6:7], v[12:13], v[6:7]
	v_fma_f64 v[8:9], v[12:13], v[4:5], v[8:9]
	v_fma_f64 v[6:7], v[4:5], v[14:15], -v[6:7]
	v_mul_f64 v[4:5], v[8:9], s[2:3]
	v_mul_f64 v[6:7], v[6:7], s[2:3]
	global_store_dwordx4 v[0:1], v[4:7], off
	global_load_dwordx4 v[4:7], v[18:19], off offset:880
	ds_read_b128 v[8:11], v166 offset:880
	ds_read_b128 v[12:15], v166 offset:1216
	v_add_co_u32 v0, vcc_lo, v0, s4
	v_add_co_ci_u32_e32 v1, vcc_lo, s5, v1, vcc_lo
	s_waitcnt vmcnt(0) lgkmcnt(1)
	v_mul_f64 v[16:17], v[10:11], v[6:7]
	v_mul_f64 v[6:7], v[8:9], v[6:7]
	v_fma_f64 v[8:9], v[8:9], v[4:5], v[16:17]
	v_fma_f64 v[6:7], v[4:5], v[10:11], -v[6:7]
	v_mul_f64 v[4:5], v[8:9], s[2:3]
	v_mul_f64 v[6:7], v[6:7], s[2:3]
	global_store_dwordx4 v[0:1], v[4:7], off
	global_load_dwordx4 v[4:7], v[18:19], off offset:1216
	v_add_co_u32 v0, vcc_lo, v0, s4
	v_add_co_ci_u32_e32 v1, vcc_lo, s5, v1, vcc_lo
	s_waitcnt vmcnt(0) lgkmcnt(0)
	v_mul_f64 v[8:9], v[14:15], v[6:7]
	v_mul_f64 v[6:7], v[12:13], v[6:7]
	v_fma_f64 v[8:9], v[12:13], v[4:5], v[8:9]
	v_fma_f64 v[6:7], v[4:5], v[14:15], -v[6:7]
	v_mul_f64 v[4:5], v[8:9], s[2:3]
	v_mul_f64 v[6:7], v[6:7], s[2:3]
	global_store_dwordx4 v[0:1], v[4:7], off
	global_load_dwordx4 v[4:7], v[18:19], off offset:1552
	ds_read_b128 v[8:11], v166 offset:1552
	ds_read_b128 v[12:15], v166 offset:1888
	v_add_co_u32 v0, vcc_lo, v0, s4
	v_add_co_ci_u32_e32 v1, vcc_lo, s5, v1, vcc_lo
	s_waitcnt vmcnt(0) lgkmcnt(1)
	v_mul_f64 v[16:17], v[10:11], v[6:7]
	v_mul_f64 v[6:7], v[8:9], v[6:7]
	v_fma_f64 v[8:9], v[8:9], v[4:5], v[16:17]
	v_fma_f64 v[6:7], v[4:5], v[10:11], -v[6:7]
	v_mul_f64 v[4:5], v[8:9], s[2:3]
	v_mul_f64 v[6:7], v[6:7], s[2:3]
	global_store_dwordx4 v[0:1], v[4:7], off
	global_load_dwordx4 v[4:7], v[18:19], off offset:1888
	v_add_co_u32 v0, vcc_lo, v0, s4
	v_add_co_ci_u32_e32 v1, vcc_lo, s5, v1, vcc_lo
	s_waitcnt vmcnt(0) lgkmcnt(0)
	v_mul_f64 v[8:9], v[14:15], v[6:7]
	v_mul_f64 v[6:7], v[12:13], v[6:7]
	v_fma_f64 v[8:9], v[12:13], v[4:5], v[8:9]
	v_fma_f64 v[6:7], v[4:5], v[14:15], -v[6:7]
	v_mul_f64 v[4:5], v[8:9], s[2:3]
	v_mul_f64 v[6:7], v[6:7], s[2:3]
	global_store_dwordx4 v[0:1], v[4:7], off
	s_clause 0x1
	buffer_load_dword v20, off, s[48:51], 0 offset:96
	buffer_load_dword v21, off, s[48:51], 0 offset:100
	s_waitcnt vmcnt(0)
	global_load_dwordx4 v[4:7], v[20:21], off offset:176
	ds_read_b128 v[8:11], v166 offset:2224
	ds_read_b128 v[12:15], v166 offset:2560
	s_waitcnt vmcnt(0) lgkmcnt(1)
	v_mul_f64 v[16:17], v[10:11], v[6:7]
	v_mul_f64 v[6:7], v[8:9], v[6:7]
	v_fma_f64 v[8:9], v[8:9], v[4:5], v[16:17]
	v_fma_f64 v[6:7], v[4:5], v[10:11], -v[6:7]
	buffer_load_dword v10, off, s[48:51], 0 offset:516 ; 4-byte Folded Reload
	v_add_co_u32 v16, vcc_lo, v0, s4
	v_add_co_ci_u32_e32 v17, vcc_lo, s5, v1, vcc_lo
	v_mul_f64 v[4:5], v[8:9], s[2:3]
	v_mul_f64 v[6:7], v[6:7], s[2:3]
	global_store_dwordx4 v[16:17], v[4:7], off
	s_waitcnt vmcnt(0)
	v_lshlrev_b32_e32 v0, 4, v10
	v_mad_u64_u32 v[8:9], null, s8, v10, 0
	global_load_dwordx4 v[4:7], v0, s[6:7]
	s_waitcnt vmcnt(0) lgkmcnt(0)
	v_mul_f64 v[0:1], v[14:15], v[6:7]
	v_mul_f64 v[6:7], v[12:13], v[6:7]
	v_fma_f64 v[0:1], v[12:13], v[4:5], v[0:1]
	v_fma_f64 v[6:7], v[4:5], v[14:15], -v[6:7]
	v_mov_b32_e32 v4, v9
	v_mad_u64_u32 v[9:10], null, s9, v10, v[4:5]
	v_mul_f64 v[4:5], v[0:1], s[2:3]
	v_mul_f64 v[6:7], v[6:7], s[2:3]
	v_lshlrev_b64 v[0:1], 4, v[8:9]
	v_add_co_u32 v0, vcc_lo, v2, v0
	v_add_co_ci_u32_e32 v1, vcc_lo, v3, v1, vcc_lo
	global_store_dwordx4 v[0:1], v[4:7], off
	global_load_dwordx4 v[0:3], v[20:21], off offset:848
	ds_read_b128 v[4:7], v166 offset:2896
	ds_read_b128 v[8:11], v166 offset:3232
	s_waitcnt vmcnt(0) lgkmcnt(1)
	v_mul_f64 v[12:13], v[6:7], v[2:3]
	v_mul_f64 v[2:3], v[4:5], v[2:3]
	v_fma_f64 v[4:5], v[4:5], v[0:1], v[12:13]
	v_fma_f64 v[2:3], v[0:1], v[6:7], -v[2:3]
	v_mad_u64_u32 v[6:7], null, 0x2a0, s8, v[16:17]
	v_add_co_u32 v12, vcc_lo, v6, s4
	v_mul_f64 v[0:1], v[4:5], s[2:3]
	v_mul_f64 v[2:3], v[2:3], s[2:3]
	v_mov_b32_e32 v4, v7
	v_mad_u64_u32 v[4:5], null, 0x2a0, s9, v[4:5]
	v_mov_b32_e32 v7, v4
	v_add_co_ci_u32_e32 v13, vcc_lo, s5, v7, vcc_lo
	global_store_dwordx4 v[6:7], v[0:3], off
	global_load_dwordx4 v[0:3], v[20:21], off offset:1184
	s_waitcnt vmcnt(0) lgkmcnt(0)
	v_mul_f64 v[4:5], v[10:11], v[2:3]
	v_mul_f64 v[2:3], v[8:9], v[2:3]
	v_fma_f64 v[4:5], v[8:9], v[0:1], v[4:5]
	v_fma_f64 v[2:3], v[0:1], v[10:11], -v[2:3]
	v_mul_f64 v[0:1], v[4:5], s[2:3]
	v_mul_f64 v[2:3], v[2:3], s[2:3]
	global_store_dwordx4 v[12:13], v[0:3], off
	global_load_dwordx4 v[0:3], v[20:21], off offset:1520
	ds_read_b128 v[4:7], v166 offset:3568
	ds_read_b128 v[8:11], v166 offset:3904
	s_waitcnt vmcnt(0) lgkmcnt(1)
	v_mul_f64 v[14:15], v[6:7], v[2:3]
	v_mul_f64 v[2:3], v[4:5], v[2:3]
	v_fma_f64 v[4:5], v[4:5], v[0:1], v[14:15]
	v_fma_f64 v[2:3], v[0:1], v[6:7], -v[2:3]
	v_mul_f64 v[0:1], v[4:5], s[2:3]
	v_mul_f64 v[2:3], v[2:3], s[2:3]
	v_add_co_u32 v4, vcc_lo, v12, s4
	v_add_co_ci_u32_e32 v5, vcc_lo, s5, v13, vcc_lo
	global_store_dwordx4 v[4:5], v[0:3], off
	global_load_dwordx4 v[0:3], v[20:21], off offset:1856
	s_waitcnt vmcnt(0) lgkmcnt(0)
	v_mul_f64 v[6:7], v[10:11], v[2:3]
	v_mul_f64 v[2:3], v[8:9], v[2:3]
	v_fma_f64 v[6:7], v[8:9], v[0:1], v[6:7]
	v_fma_f64 v[2:3], v[0:1], v[10:11], -v[2:3]
	v_add_co_u32 v8, vcc_lo, v4, s4
	v_add_co_ci_u32_e32 v9, vcc_lo, s5, v5, vcc_lo
	v_add_co_u32 v4, vcc_lo, 0x1000, v18
	v_add_co_ci_u32_e32 v5, vcc_lo, 0, v19, vcc_lo
	v_mul_f64 v[0:1], v[6:7], s[2:3]
	v_mul_f64 v[2:3], v[2:3], s[2:3]
	global_store_dwordx4 v[8:9], v[0:3], off
	global_load_dwordx4 v[0:3], v[4:5], off offset:144
	ds_read_b128 v[4:7], v166 offset:4240
	s_waitcnt vmcnt(0) lgkmcnt(0)
	v_mul_f64 v[10:11], v[6:7], v[2:3]
	v_mul_f64 v[2:3], v[4:5], v[2:3]
	v_fma_f64 v[4:5], v[4:5], v[0:1], v[10:11]
	v_fma_f64 v[2:3], v[0:1], v[6:7], -v[2:3]
	v_mul_f64 v[0:1], v[4:5], s[2:3]
	v_mul_f64 v[2:3], v[2:3], s[2:3]
	v_add_co_u32 v4, vcc_lo, v8, s4
	v_add_co_ci_u32_e32 v5, vcc_lo, s5, v9, vcc_lo
	global_store_dwordx4 v[4:5], v[0:3], off
.LBB0_15:
	s_endpgm
	.section	.rodata,"a",@progbits
	.p2align	6, 0x0
	.amdhsa_kernel bluestein_single_back_len273_dim1_dp_op_CI_CI
		.amdhsa_group_segment_fixed_size 17472
		.amdhsa_private_segment_fixed_size 524
		.amdhsa_kernarg_size 104
		.amdhsa_user_sgpr_count 6
		.amdhsa_user_sgpr_private_segment_buffer 1
		.amdhsa_user_sgpr_dispatch_ptr 0
		.amdhsa_user_sgpr_queue_ptr 0
		.amdhsa_user_sgpr_kernarg_segment_ptr 1
		.amdhsa_user_sgpr_dispatch_id 0
		.amdhsa_user_sgpr_flat_scratch_init 0
		.amdhsa_user_sgpr_private_segment_size 0
		.amdhsa_wavefront_size32 1
		.amdhsa_uses_dynamic_stack 0
		.amdhsa_system_sgpr_private_segment_wavefront_offset 1
		.amdhsa_system_sgpr_workgroup_id_x 1
		.amdhsa_system_sgpr_workgroup_id_y 0
		.amdhsa_system_sgpr_workgroup_id_z 0
		.amdhsa_system_sgpr_workgroup_info 0
		.amdhsa_system_vgpr_workitem_id 0
		.amdhsa_next_free_vgpr 256
		.amdhsa_next_free_sgpr 52
		.amdhsa_reserve_vcc 1
		.amdhsa_reserve_flat_scratch 0
		.amdhsa_float_round_mode_32 0
		.amdhsa_float_round_mode_16_64 0
		.amdhsa_float_denorm_mode_32 3
		.amdhsa_float_denorm_mode_16_64 3
		.amdhsa_dx10_clamp 1
		.amdhsa_ieee_mode 1
		.amdhsa_fp16_overflow 0
		.amdhsa_workgroup_processor_mode 1
		.amdhsa_memory_ordered 1
		.amdhsa_forward_progress 0
		.amdhsa_shared_vgpr_count 0
		.amdhsa_exception_fp_ieee_invalid_op 0
		.amdhsa_exception_fp_denorm_src 0
		.amdhsa_exception_fp_ieee_div_zero 0
		.amdhsa_exception_fp_ieee_overflow 0
		.amdhsa_exception_fp_ieee_underflow 0
		.amdhsa_exception_fp_ieee_inexact 0
		.amdhsa_exception_int_div_zero 0
	.end_amdhsa_kernel
	.text
.Lfunc_end0:
	.size	bluestein_single_back_len273_dim1_dp_op_CI_CI, .Lfunc_end0-bluestein_single_back_len273_dim1_dp_op_CI_CI
                                        ; -- End function
	.section	.AMDGPU.csdata,"",@progbits
; Kernel info:
; codeLenInByte = 35108
; NumSgprs: 54
; NumVgprs: 256
; ScratchSize: 524
; MemoryBound: 0
; FloatMode: 240
; IeeeMode: 1
; LDSByteSize: 17472 bytes/workgroup (compile time only)
; SGPRBlocks: 6
; VGPRBlocks: 31
; NumSGPRsForWavesPerEU: 54
; NumVGPRsForWavesPerEU: 256
; Occupancy: 4
; WaveLimiterHint : 1
; COMPUTE_PGM_RSRC2:SCRATCH_EN: 1
; COMPUTE_PGM_RSRC2:USER_SGPR: 6
; COMPUTE_PGM_RSRC2:TRAP_HANDLER: 0
; COMPUTE_PGM_RSRC2:TGID_X_EN: 1
; COMPUTE_PGM_RSRC2:TGID_Y_EN: 0
; COMPUTE_PGM_RSRC2:TGID_Z_EN: 0
; COMPUTE_PGM_RSRC2:TIDIG_COMP_CNT: 0
	.text
	.p2alignl 6, 3214868480
	.fill 48, 4, 3214868480
	.type	__hip_cuid_76031a2d829955e2,@object ; @__hip_cuid_76031a2d829955e2
	.section	.bss,"aw",@nobits
	.globl	__hip_cuid_76031a2d829955e2
__hip_cuid_76031a2d829955e2:
	.byte	0                               ; 0x0
	.size	__hip_cuid_76031a2d829955e2, 1

	.ident	"AMD clang version 19.0.0git (https://github.com/RadeonOpenCompute/llvm-project roc-6.4.0 25133 c7fe45cf4b819c5991fe208aaa96edf142730f1d)"
	.section	".note.GNU-stack","",@progbits
	.addrsig
	.addrsig_sym __hip_cuid_76031a2d829955e2
	.amdgpu_metadata
---
amdhsa.kernels:
  - .args:
      - .actual_access:  read_only
        .address_space:  global
        .offset:         0
        .size:           8
        .value_kind:     global_buffer
      - .actual_access:  read_only
        .address_space:  global
        .offset:         8
        .size:           8
        .value_kind:     global_buffer
      - .actual_access:  read_only
        .address_space:  global
        .offset:         16
        .size:           8
        .value_kind:     global_buffer
      - .actual_access:  read_only
        .address_space:  global
        .offset:         24
        .size:           8
        .value_kind:     global_buffer
      - .actual_access:  read_only
        .address_space:  global
        .offset:         32
        .size:           8
        .value_kind:     global_buffer
      - .offset:         40
        .size:           8
        .value_kind:     by_value
      - .address_space:  global
        .offset:         48
        .size:           8
        .value_kind:     global_buffer
      - .address_space:  global
        .offset:         56
        .size:           8
        .value_kind:     global_buffer
      - .address_space:  global
        .offset:         64
        .size:           8
        .value_kind:     global_buffer
      - .address_space:  global
        .offset:         72
        .size:           8
        .value_kind:     global_buffer
      - .offset:         80
        .size:           4
        .value_kind:     by_value
      - .address_space:  global
        .offset:         88
        .size:           8
        .value_kind:     global_buffer
      - .address_space:  global
        .offset:         96
        .size:           8
        .value_kind:     global_buffer
    .group_segment_fixed_size: 17472
    .kernarg_segment_align: 8
    .kernarg_segment_size: 104
    .language:       OpenCL C
    .language_version:
      - 2
      - 0
    .max_flat_workgroup_size: 52
    .name:           bluestein_single_back_len273_dim1_dp_op_CI_CI
    .private_segment_fixed_size: 524
    .sgpr_count:     54
    .sgpr_spill_count: 0
    .symbol:         bluestein_single_back_len273_dim1_dp_op_CI_CI.kd
    .uniform_work_group_size: 1
    .uses_dynamic_stack: false
    .vgpr_count:     256
    .vgpr_spill_count: 173
    .wavefront_size: 32
    .workgroup_processor_mode: 1
amdhsa.target:   amdgcn-amd-amdhsa--gfx1030
amdhsa.version:
  - 1
  - 2
...

	.end_amdgpu_metadata
